;; amdgpu-corpus repo=ROCm/rocFFT kind=compiled arch=gfx950 opt=O3
	.text
	.amdgcn_target "amdgcn-amd-amdhsa--gfx950"
	.amdhsa_code_object_version 6
	.protected	fft_rtc_fwd_len578_factors_17_17_2_wgs_238_tpt_34_halfLds_dp_ip_CI_unitstride_sbrr_R2C_dirReg ; -- Begin function fft_rtc_fwd_len578_factors_17_17_2_wgs_238_tpt_34_halfLds_dp_ip_CI_unitstride_sbrr_R2C_dirReg
	.globl	fft_rtc_fwd_len578_factors_17_17_2_wgs_238_tpt_34_halfLds_dp_ip_CI_unitstride_sbrr_R2C_dirReg
	.p2align	8
	.type	fft_rtc_fwd_len578_factors_17_17_2_wgs_238_tpt_34_halfLds_dp_ip_CI_unitstride_sbrr_R2C_dirReg,@function
fft_rtc_fwd_len578_factors_17_17_2_wgs_238_tpt_34_halfLds_dp_ip_CI_unitstride_sbrr_R2C_dirReg: ; @fft_rtc_fwd_len578_factors_17_17_2_wgs_238_tpt_34_halfLds_dp_ip_CI_unitstride_sbrr_R2C_dirReg
; %bb.0:
	s_load_dwordx2 s[8:9], s[0:1], 0x50
	s_load_dwordx4 s[4:7], s[0:1], 0x0
	s_load_dwordx2 s[10:11], s[0:1], 0x18
	v_mul_u32_u24_e32 v1, 0x788, v0
	v_lshrrev_b32_e32 v2, 16, v1
	v_mad_u64_u32 v[2:3], s[2:3], s2, 7, v[2:3]
	v_mov_b32_e32 v6, 0
	v_mov_b32_e32 v3, v6
	s_waitcnt lgkmcnt(0)
	v_cmp_lt_u64_e64 s[2:3], s[6:7], 2
	s_and_b64 vcc, exec, s[2:3]
	v_mov_b64_e32 v[4:5], 0
	v_mov_b64_e32 v[10:11], v[2:3]
	s_cbranch_vccnz .LBB0_8
; %bb.1:
	s_load_dwordx2 s[2:3], s[0:1], 0x10
	s_add_u32 s12, s10, 8
	s_addc_u32 s13, s11, 0
	s_mov_b64 s[14:15], 1
	v_mov_b64_e32 v[4:5], 0
	s_waitcnt lgkmcnt(0)
	s_add_u32 s16, s2, 8
	s_addc_u32 s17, s3, 0
	v_mov_b64_e32 v[8:9], v[2:3]
.LBB0_2:                                ; =>This Inner Loop Header: Depth=1
	s_load_dwordx2 s[18:19], s[16:17], 0x0
                                        ; implicit-def: $vgpr10_vgpr11
	s_waitcnt lgkmcnt(0)
	v_or_b32_e32 v7, s19, v9
	v_cmp_ne_u64_e32 vcc, 0, v[6:7]
	s_and_saveexec_b64 s[2:3], vcc
	s_xor_b64 s[20:21], exec, s[2:3]
	s_cbranch_execz .LBB0_4
; %bb.3:                                ;   in Loop: Header=BB0_2 Depth=1
	v_cvt_f32_u32_e32 v1, s18
	v_cvt_f32_u32_e32 v3, s19
	s_sub_u32 s2, 0, s18
	s_subb_u32 s3, 0, s19
	v_fmac_f32_e32 v1, 0x4f800000, v3
	v_rcp_f32_e32 v1, v1
	s_nop 0
	v_mul_f32_e32 v1, 0x5f7ffffc, v1
	v_mul_f32_e32 v3, 0x2f800000, v1
	v_trunc_f32_e32 v3, v3
	v_fmac_f32_e32 v1, 0xcf800000, v3
	v_cvt_u32_f32_e32 v3, v3
	v_cvt_u32_f32_e32 v1, v1
	v_mul_lo_u32 v7, s2, v3
	v_mul_hi_u32 v10, s2, v1
	v_mul_lo_u32 v11, s3, v1
	v_add_u32_e32 v7, v10, v7
	v_mul_lo_u32 v14, s2, v1
	v_add_u32_e32 v7, v7, v11
	v_mul_hi_u32 v10, v1, v14
	v_mul_hi_u32 v13, v1, v7
	v_mul_lo_u32 v12, v1, v7
	v_mov_b32_e32 v11, v6
	v_lshl_add_u64 v[10:11], v[10:11], 0, v[12:13]
	v_mul_hi_u32 v13, v3, v14
	v_mul_lo_u32 v14, v3, v14
	v_add_co_u32_e32 v10, vcc, v10, v14
	v_mul_hi_u32 v12, v3, v7
	s_nop 0
	v_addc_co_u32_e32 v10, vcc, v11, v13, vcc
	v_mov_b32_e32 v11, v6
	s_nop 0
	v_addc_co_u32_e32 v13, vcc, 0, v12, vcc
	v_mul_lo_u32 v12, v3, v7
	v_lshl_add_u64 v[10:11], v[10:11], 0, v[12:13]
	v_add_co_u32_e32 v1, vcc, v1, v10
	v_mul_hi_u32 v10, s2, v1
	s_nop 0
	v_addc_co_u32_e32 v3, vcc, v3, v11, vcc
	v_mul_lo_u32 v7, s2, v3
	v_add_u32_e32 v7, v10, v7
	v_mul_lo_u32 v10, s3, v1
	v_add_u32_e32 v7, v7, v10
	v_mul_lo_u32 v12, s2, v1
	v_mul_hi_u32 v15, v3, v12
	v_mul_lo_u32 v16, v3, v12
	v_mul_hi_u32 v11, v1, v7
	;; [unrolled: 2-line block ×3, first 2 shown]
	v_mov_b32_e32 v13, v6
	v_lshl_add_u64 v[10:11], v[12:13], 0, v[10:11]
	v_add_co_u32_e32 v10, vcc, v10, v16
	v_mul_hi_u32 v14, v3, v7
	s_nop 0
	v_addc_co_u32_e32 v10, vcc, v11, v15, vcc
	v_mul_lo_u32 v12, v3, v7
	s_nop 0
	v_addc_co_u32_e32 v13, vcc, 0, v14, vcc
	v_mov_b32_e32 v11, v6
	v_lshl_add_u64 v[10:11], v[10:11], 0, v[12:13]
	v_add_co_u32_e32 v1, vcc, v1, v10
	v_mul_hi_u32 v12, v8, v1
	s_nop 0
	v_addc_co_u32_e32 v3, vcc, v3, v11, vcc
	v_mad_u64_u32 v[10:11], s[2:3], v8, v3, 0
	v_mov_b32_e32 v13, v6
	v_lshl_add_u64 v[10:11], v[12:13], 0, v[10:11]
	v_mad_u64_u32 v[14:15], s[2:3], v9, v1, 0
	v_add_co_u32_e32 v1, vcc, v10, v14
	v_mad_u64_u32 v[12:13], s[2:3], v9, v3, 0
	s_nop 0
	v_addc_co_u32_e32 v10, vcc, v11, v15, vcc
	v_mov_b32_e32 v11, v6
	s_nop 0
	v_addc_co_u32_e32 v13, vcc, 0, v13, vcc
	v_lshl_add_u64 v[10:11], v[10:11], 0, v[12:13]
	v_mul_lo_u32 v1, s19, v10
	v_mul_lo_u32 v3, s18, v11
	v_mad_u64_u32 v[12:13], s[2:3], s18, v10, 0
	v_add3_u32 v1, v13, v3, v1
	v_sub_u32_e32 v3, v9, v1
	v_mov_b32_e32 v7, s19
	v_sub_co_u32_e32 v16, vcc, v8, v12
	v_lshl_add_u64 v[14:15], v[10:11], 0, 1
	s_nop 0
	v_subb_co_u32_e64 v3, s[2:3], v3, v7, vcc
	v_subrev_co_u32_e64 v7, s[2:3], s18, v16
	v_subb_co_u32_e32 v1, vcc, v9, v1, vcc
	s_nop 0
	v_subbrev_co_u32_e64 v3, s[2:3], 0, v3, s[2:3]
	v_cmp_le_u32_e64 s[2:3], s19, v3
	v_cmp_le_u32_e32 vcc, s19, v1
	s_nop 0
	v_cndmask_b32_e64 v12, 0, -1, s[2:3]
	v_cmp_le_u32_e64 s[2:3], s18, v7
	s_nop 1
	v_cndmask_b32_e64 v7, 0, -1, s[2:3]
	v_cmp_eq_u32_e64 s[2:3], s19, v3
	s_nop 1
	v_cndmask_b32_e64 v3, v12, v7, s[2:3]
	v_lshl_add_u64 v[12:13], v[10:11], 0, 2
	v_cmp_ne_u32_e64 s[2:3], 0, v3
	v_cndmask_b32_e64 v7, 0, -1, vcc
	v_cmp_le_u32_e32 vcc, s18, v16
	v_cndmask_b32_e64 v3, v15, v13, s[2:3]
	s_nop 0
	v_cndmask_b32_e64 v13, 0, -1, vcc
	v_cmp_eq_u32_e32 vcc, s19, v1
	s_nop 1
	v_cndmask_b32_e32 v1, v7, v13, vcc
	v_cmp_ne_u32_e32 vcc, 0, v1
	v_cndmask_b32_e64 v1, v14, v12, s[2:3]
	s_nop 0
	v_cndmask_b32_e32 v11, v11, v3, vcc
	v_cndmask_b32_e32 v10, v10, v1, vcc
.LBB0_4:                                ;   in Loop: Header=BB0_2 Depth=1
	s_andn2_saveexec_b64 s[2:3], s[20:21]
	s_cbranch_execz .LBB0_6
; %bb.5:                                ;   in Loop: Header=BB0_2 Depth=1
	v_cvt_f32_u32_e32 v1, s18
	s_sub_i32 s20, 0, s18
	v_mov_b32_e32 v11, v6
	v_rcp_iflag_f32_e32 v1, v1
	s_nop 0
	v_mul_f32_e32 v1, 0x4f7ffffe, v1
	v_cvt_u32_f32_e32 v1, v1
	v_mul_lo_u32 v3, s20, v1
	v_mul_hi_u32 v3, v1, v3
	v_add_u32_e32 v1, v1, v3
	v_mul_hi_u32 v1, v8, v1
	v_mul_lo_u32 v3, v1, s18
	v_sub_u32_e32 v3, v8, v3
	v_add_u32_e32 v7, 1, v1
	v_subrev_u32_e32 v10, s18, v3
	v_cmp_le_u32_e32 vcc, s18, v3
	s_nop 1
	v_cndmask_b32_e32 v3, v3, v10, vcc
	v_cndmask_b32_e32 v1, v1, v7, vcc
	v_add_u32_e32 v7, 1, v1
	v_cmp_le_u32_e32 vcc, s18, v3
	s_nop 1
	v_cndmask_b32_e32 v10, v1, v7, vcc
.LBB0_6:                                ;   in Loop: Header=BB0_2 Depth=1
	s_or_b64 exec, exec, s[2:3]
	v_mad_u64_u32 v[12:13], s[2:3], v10, s18, 0
	s_load_dwordx2 s[2:3], s[12:13], 0x0
	s_add_u32 s14, s14, 1
	v_mul_lo_u32 v1, v11, s18
	v_mul_lo_u32 v3, v10, s19
	s_addc_u32 s15, s15, 0
	v_add3_u32 v1, v13, v3, v1
	v_sub_co_u32_e32 v3, vcc, v8, v12
	s_add_u32 s12, s12, 8
	s_nop 0
	v_subb_co_u32_e32 v1, vcc, v9, v1, vcc
	s_addc_u32 s13, s13, 0
	v_mov_b64_e32 v[8:9], s[6:7]
	s_waitcnt lgkmcnt(0)
	v_mul_lo_u32 v1, s2, v1
	v_mul_lo_u32 v7, s3, v3
	v_mad_u64_u32 v[4:5], s[2:3], s2, v3, v[4:5]
	s_add_u32 s16, s16, 8
	v_cmp_ge_u64_e32 vcc, s[14:15], v[8:9]
	v_add3_u32 v5, v7, v5, v1
	s_addc_u32 s17, s17, 0
	s_cbranch_vccnz .LBB0_8
; %bb.7:                                ;   in Loop: Header=BB0_2 Depth=1
	v_mov_b64_e32 v[8:9], v[10:11]
	s_branch .LBB0_2
.LBB0_8:
	s_lshl_b64 s[2:3], s[6:7], 3
	s_add_u32 s2, s10, s2
	s_addc_u32 s3, s11, s3
	s_load_dwordx2 s[6:7], s[2:3], 0x0
	s_load_dwordx2 s[10:11], s[0:1], 0x20
	s_mov_b32 s2, 0x7878788
                                        ; implicit-def: $vgpr90
                                        ; implicit-def: $vgpr86
                                        ; implicit-def: $vgpr84
                                        ; implicit-def: $vgpr82
                                        ; implicit-def: $vgpr80
                                        ; implicit-def: $vgpr78
                                        ; implicit-def: $vgpr76
	s_waitcnt lgkmcnt(0)
	v_mad_u64_u32 v[4:5], s[0:1], s6, v10, v[4:5]
	v_mul_lo_u32 v1, s6, v11
	v_mul_lo_u32 v3, s7, v10
	s_mov_b32 s0, 0x24924925
	v_add3_u32 v5, v3, v5, v1
	v_mul_hi_u32 v1, v2, s0
	v_sub_u32_e32 v3, v2, v1
	v_lshrrev_b32_e32 v3, 1, v3
	v_add_u32_e32 v1, v3, v1
	v_lshrrev_b32_e32 v1, 2, v1
	v_mul_lo_u32 v1, v1, 7
	v_sub_u32_e32 v1, v2, v1
	v_mul_hi_u32 v2, v0, s2
	v_mul_u32_u24_e32 v2, 34, v2
	v_sub_u32_e32 v72, v0, v2
	v_cmp_gt_u64_e64 s[0:1], s[10:11], v[10:11]
	v_cmp_le_u64_e32 vcc, s[10:11], v[10:11]
	v_add_u32_e32 v88, 34, v72
	s_and_saveexec_b64 s[2:3], vcc
	s_xor_b64 s[2:3], exec, s[2:3]
; %bb.9:
	v_add_u32_e32 v88, 34, v72
	v_add_u32_e32 v90, 0x44, v72
	;; [unrolled: 1-line block ×8, first 2 shown]
; %bb.10:
	s_or_saveexec_b64 s[2:3], s[2:3]
	v_mul_u32_u24_e32 v0, 0x243, v1
	v_lshl_add_u64 v[74:75], v[4:5], 4, s[8:9]
	v_lshlrev_b32_e32 v79, 4, v0
	v_lshlrev_b32_e32 v77, 4, v72
	s_xor_b64 exec, exec, s[2:3]
	s_cbranch_execz .LBB0_12
; %bb.11:
	v_mov_b32_e32 v73, 0
	v_lshl_add_u64 v[64:65], v[72:73], 4, v[74:75]
	s_movk_i32 s6, 0x1000
	v_add_co_u32_e32 v66, vcc, s6, v64
	global_load_dwordx4 v[0:3], v[64:65], off
	global_load_dwordx4 v[4:7], v[64:65], off offset:544
	global_load_dwordx4 v[8:11], v[64:65], off offset:1088
	;; [unrolled: 1-line block ×3, first 2 shown]
	v_addc_co_u32_e32 v67, vcc, 0, v65, vcc
	global_load_dwordx4 v[16:19], v[64:65], off offset:2176
	global_load_dwordx4 v[20:23], v[64:65], off offset:2720
	;; [unrolled: 1-line block ×12, first 2 shown]
	v_add_co_u32_e32 v64, vcc, 0x2000, v64
	v_add3_u32 v68, 0, v79, v77
	s_nop 0
	v_addc_co_u32_e32 v65, vcc, 0, v65, vcc
	global_load_dwordx4 v[64:67], v[64:65], off offset:512
	v_add_u32_e32 v90, 0x44, v72
	v_add_u32_e32 v86, 0x66, v72
	;; [unrolled: 1-line block ×7, first 2 shown]
	s_waitcnt vmcnt(16)
	ds_write_b128 v68, v[0:3]
	s_waitcnt vmcnt(15)
	ds_write_b128 v68, v[4:7] offset:544
	s_waitcnt vmcnt(14)
	ds_write_b128 v68, v[8:11] offset:1088
	;; [unrolled: 2-line block ×16, first 2 shown]
.LBB0_12:
	s_or_b64 exec, exec, s[2:3]
	v_add_u32_e32 v161, 0, v79
	v_add_u32_e32 v160, v161, v77
	s_waitcnt lgkmcnt(0)
	s_barrier
	v_add3_u32 v162, 0, v77, v79
	ds_read_b128 v[60:63], v160
	ds_read_b128 v[64:67], v162 offset:544
	ds_read_b128 v[52:55], v162 offset:1088
	;; [unrolled: 1-line block ×16, first 2 shown]
	s_waitcnt lgkmcnt(14)
	v_add_f64 v[0:1], v[60:61], v[64:65]
	v_add_f64 v[2:3], v[62:63], v[66:67]
	;; [unrolled: 1-line block ×4, first 2 shown]
	s_waitcnt lgkmcnt(13)
	v_add_f64 v[0:1], v[0:1], v[44:45]
	v_add_f64 v[2:3], v[2:3], v[46:47]
	s_waitcnt lgkmcnt(12)
	v_add_f64 v[0:1], v[0:1], v[36:37]
	v_add_f64 v[2:3], v[2:3], v[38:39]
	;; [unrolled: 3-line block ×11, first 2 shown]
	s_waitcnt lgkmcnt(2)
	v_add_f64 v[0:1], v[0:1], v[48:49]
	s_mov_b32 s36, 0x5d8e7cdc
	v_add_f64 v[2:3], v[2:3], v[50:51]
	s_waitcnt lgkmcnt(1)
	v_add_f64 v[0:1], v[0:1], v[56:57]
	s_waitcnt lgkmcnt(0)
	v_add_f64 v[140:141], v[66:67], -v[70:71]
	s_mov_b32 s37, 0xbfd71e95
	s_mov_b32 s24, 0x370991
	;; [unrolled: 1-line block ×9, first 2 shown]
	v_add_f64 v[2:3], v[2:3], v[58:59]
	v_add_f64 v[0:1], v[0:1], v[68:69]
	;; [unrolled: 1-line block ×3, first 2 shown]
	v_add_f64 v[142:143], v[64:65], -v[68:69]
	v_mul_f64 v[68:69], v[140:141], s[36:37]
	s_mov_b32 s25, 0x3fedd6d0
	s_mov_b32 s45, 0xbfe58eea
	;; [unrolled: 1-line block ×15, first 2 shown]
	v_add_f64 v[170:171], v[54:55], -v[58:59]
	v_add_f64 v[2:3], v[2:3], v[70:71]
	v_add_f64 v[146:147], v[66:67], v[70:71]
	v_fma_f64 v[64:65], v[144:145], s[24:25], -v[68:69]
	v_mul_f64 v[70:71], v[142:143], s[36:37]
	v_mul_f64 v[96:97], v[140:141], s[44:45]
	s_mov_b32 s19, 0x3fe7a5f6
	v_mul_f64 v[98:99], v[142:143], s[44:45]
	v_mul_f64 v[104:105], v[140:141], s[46:47]
	s_mov_b32 s13, 0x3fdc86fa
	;; [unrolled: 3-line block ×7, first 2 shown]
	v_mul_f64 v[150:151], v[142:143], s[30:31]
	v_add_f64 v[164:165], v[52:53], v[56:57]
	v_add_f64 v[168:169], v[52:53], -v[56:57]
	v_mul_f64 v[52:53], v[170:171], s[44:45]
	v_add_f64 v[64:65], v[60:61], v[64:65]
	v_fma_f64 v[66:67], s[24:25], v[146:147], v[70:71]
	v_fmac_f64_e32 v[68:69], s[24:25], v[144:145]
	v_fma_f64 v[70:71], v[146:147], s[24:25], -v[70:71]
	v_fma_f64 v[92:93], v[144:145], s[18:19], -v[96:97]
	v_fma_f64 v[94:95], s[18:19], v[146:147], v[98:99]
	v_fmac_f64_e32 v[96:97], s[18:19], v[144:145]
	v_fma_f64 v[98:99], v[146:147], s[18:19], -v[98:99]
	v_fma_f64 v[100:101], v[144:145], s[12:13], -v[104:105]
	;; [unrolled: 4-line block ×7, first 2 shown]
	v_fma_f64 v[142:143], s[28:29], v[146:147], v[150:151]
	v_fmac_f64_e32 v[148:149], s[28:29], v[144:145]
	v_fma_f64 v[144:145], v[146:147], s[28:29], -v[150:151]
	v_add_f64 v[166:167], v[54:55], v[58:59]
	v_fma_f64 v[54:55], v[164:165], s[18:19], -v[52:53]
	v_add_f64 v[66:67], v[62:63], v[66:67]
	v_add_f64 v[68:69], v[60:61], v[68:69]
	;; [unrolled: 1-line block ×18, first 2 shown]
	v_mul_f64 v[54:55], v[168:169], s[44:45]
	v_fmac_f64_e32 v[52:53], s[18:19], v[164:165]
	v_add_f64 v[92:93], v[60:61], v[92:93]
	v_add_f64 v[96:97], v[60:61], v[96:97]
	;; [unrolled: 1-line block ×15, first 2 shown]
	v_fma_f64 v[52:53], v[166:167], s[18:19], -v[54:55]
	v_add_f64 v[150:151], v[52:53], v[70:71]
	v_mul_f64 v[52:53], v[170:171], s[42:43]
	v_fma_f64 v[56:57], s[18:19], v[166:167], v[54:55]
	v_fma_f64 v[54:55], v[164:165], s[6:7], -v[52:53]
	v_add_f64 v[152:153], v[54:55], v[92:93]
	v_mul_f64 v[54:55], v[168:169], s[42:43]
	v_fmac_f64_e32 v[52:53], s[6:7], v[164:165]
	s_mov_b32 s51, 0x3fe0d888
	s_mov_b32 s50, s26
	v_add_f64 v[146:147], v[56:57], v[66:67]
	v_fma_f64 v[56:57], s[6:7], v[166:167], v[54:55]
	v_add_f64 v[156:157], v[52:53], v[96:97]
	v_fma_f64 v[52:53], v[166:167], s[6:7], -v[54:55]
	v_mul_f64 v[96:97], v[170:171], s[50:51]
	v_add_f64 v[154:155], v[56:57], v[94:95]
	v_add_f64 v[158:159], v[52:53], v[98:99]
	v_mul_f64 v[56:57], v[170:171], s[16:17]
	v_mul_f64 v[58:59], v[168:169], s[16:17]
	v_mul_f64 v[70:71], v[168:169], s[30:31]
	v_fma_f64 v[92:93], v[164:165], s[22:23], -v[96:97]
	v_mul_f64 v[98:99], v[168:169], s[50:51]
	v_fmac_f64_e32 v[96:97], s[22:23], v[164:165]
	s_mov_b32 s41, 0x3fd71e95
	s_mov_b32 s40, s36
	v_fma_f64 v[52:53], v[164:165], s[14:15], -v[56:57]
	v_fma_f64 v[54:55], s[14:15], v[166:167], v[58:59]
	v_fmac_f64_e32 v[56:57], s[14:15], v[164:165]
	v_fma_f64 v[58:59], v[166:167], s[14:15], -v[58:59]
	v_fma_f64 v[66:67], s[28:29], v[166:167], v[70:71]
	v_fma_f64 v[70:71], v[166:167], s[28:29], -v[70:71]
	v_fma_f64 v[94:95], s[22:23], v[166:167], v[98:99]
	v_add_f64 v[96:97], v[96:97], v[120:121]
	v_fma_f64 v[98:99], v[166:167], s[22:23], -v[98:99]
	s_mov_b32 s49, 0x3feec746
	s_mov_b32 s48, s10
	;; [unrolled: 1-line block ×4, first 2 shown]
	v_mul_f64 v[120:121], v[170:171], s[40:41]
	v_add_f64 v[56:57], v[56:57], v[104:105]
	v_add_f64 v[58:59], v[58:59], v[106:107]
	v_mul_f64 v[68:69], v[170:171], s[30:31]
	v_add_f64 v[70:71], v[70:71], v[114:115]
	v_add_f64 v[92:93], v[92:93], v[116:117]
	;; [unrolled: 1-line block ×3, first 2 shown]
	v_mul_f64 v[104:105], v[170:171], s[48:49]
	v_mul_f64 v[106:107], v[168:169], s[48:49]
	;; [unrolled: 1-line block ×3, first 2 shown]
	v_fma_f64 v[116:117], v[164:165], s[24:25], -v[120:121]
	v_mul_f64 v[122:123], v[168:169], s[40:41]
	v_fmac_f64_e32 v[120:121], s[24:25], v[164:165]
	v_add_f64 v[52:53], v[52:53], v[100:101]
	v_add_f64 v[54:55], v[54:55], v[102:103]
	v_fma_f64 v[64:65], v[164:165], s[28:29], -v[68:69]
	v_add_f64 v[66:67], v[66:67], v[110:111]
	v_fmac_f64_e32 v[68:69], s[28:29], v[164:165]
	v_add_f64 v[94:95], v[94:95], v[118:119]
	v_fma_f64 v[100:101], v[164:165], s[8:9], -v[104:105]
	v_fma_f64 v[102:103], s[8:9], v[166:167], v[106:107]
	v_fmac_f64_e32 v[104:105], s[8:9], v[164:165]
	v_fma_f64 v[106:107], v[166:167], s[8:9], -v[106:107]
	v_fma_f64 v[110:111], s[12:13], v[166:167], v[114:115]
	v_fma_f64 v[114:115], v[166:167], s[12:13], -v[114:115]
	v_fma_f64 v[118:119], s[24:25], v[166:167], v[122:123]
	v_add_f64 v[60:61], v[120:121], v[60:61]
	v_fma_f64 v[120:121], v[166:167], s[24:25], -v[122:123]
	v_add_f64 v[166:167], v[46:47], -v[50:51]
	s_mov_b32 s55, 0x3fc7851a
	s_mov_b32 s54, s30
	v_add_f64 v[68:69], v[68:69], v[112:113]
	v_add_f64 v[104:105], v[104:105], v[128:129]
	v_mul_f64 v[112:113], v[170:171], s[20:21]
	v_add_f64 v[116:117], v[116:117], v[140:141]
	v_add_f64 v[140:141], v[44:45], v[48:49]
	v_mul_f64 v[128:129], v[166:167], s[54:55]
	v_add_f64 v[64:65], v[64:65], v[108:109]
	v_add_f64 v[106:107], v[106:107], v[130:131]
	v_fma_f64 v[108:109], v[164:165], s[12:13], -v[112:113]
	v_fmac_f64_e32 v[112:113], s[12:13], v[164:165]
	v_add_f64 v[164:165], v[44:45], -v[48:49]
	v_fma_f64 v[130:131], v[140:141], s[28:29], -v[128:129]
	v_add_f64 v[118:119], v[118:119], v[142:143]
	v_add_f64 v[142:143], v[46:47], v[50:51]
	;; [unrolled: 1-line block ×3, first 2 shown]
	v_mul_f64 v[130:131], v[164:165], s[54:55]
	v_fmac_f64_e32 v[128:129], s[28:29], v[140:141]
	v_add_f64 v[56:57], v[128:129], v[56:57]
	v_fma_f64 v[128:129], v[142:143], s[28:29], -v[130:131]
	v_add_f64 v[58:59], v[128:129], v[58:59]
	v_mul_f64 v[128:129], v[166:167], s[48:49]
	v_add_f64 v[108:109], v[108:109], v[132:133]
	v_fma_f64 v[132:133], s[28:29], v[142:143], v[130:131]
	v_fma_f64 v[130:131], v[140:141], s[8:9], -v[128:129]
	v_add_f64 v[64:65], v[130:131], v[64:65]
	v_mul_f64 v[130:131], v[164:165], s[48:49]
	v_add_f64 v[54:55], v[132:133], v[54:55]
	v_fma_f64 v[132:133], s[8:9], v[142:143], v[130:131]
	v_fmac_f64_e32 v[128:129], s[8:9], v[140:141]
	s_mov_b32 s39, 0x3fe58eea
	s_mov_b32 s38, s44
	v_add_f64 v[66:67], v[132:133], v[66:67]
	v_add_f64 v[68:69], v[128:129], v[68:69]
	v_fma_f64 v[128:129], v[142:143], s[8:9], -v[130:131]
	v_mul_f64 v[132:133], v[166:167], s[38:39]
	v_add_f64 v[70:71], v[128:129], v[70:71]
	v_fma_f64 v[128:129], v[140:141], s[18:19], -v[132:133]
	v_add_f64 v[128:129], v[128:129], v[92:93]
	v_mul_f64 v[92:93], v[164:165], s[38:39]
	v_fma_f64 v[130:131], s[18:19], v[142:143], v[92:93]
	v_fma_f64 v[92:93], v[142:143], s[18:19], -v[92:93]
	v_add_f64 v[110:111], v[110:111], v[134:135]
	v_add_f64 v[134:135], v[92:93], v[98:99]
	v_mul_f64 v[92:93], v[166:167], s[36:37]
	v_add_f64 v[100:101], v[100:101], v[124:125]
	v_add_f64 v[130:131], v[130:131], v[94:95]
	v_fma_f64 v[94:95], v[140:141], s[24:25], -v[92:93]
	v_add_f64 v[112:113], v[112:113], v[136:137]
	v_fmac_f64_e32 v[132:133], s[18:19], v[140:141]
	v_add_f64 v[136:137], v[94:95], v[100:101]
	v_mul_f64 v[94:95], v[164:165], s[36:37]
	v_add_f64 v[102:103], v[102:103], v[126:127]
	v_add_f64 v[132:133], v[132:133], v[96:97]
	v_fma_f64 v[96:97], s[24:25], v[142:143], v[94:95]
	v_fmac_f64_e32 v[92:93], s[24:25], v[140:141]
	v_add_f64 v[114:115], v[114:115], v[138:139]
	v_add_f64 v[138:139], v[96:97], v[102:103]
	v_add_f64 v[104:105], v[92:93], v[104:105]
	v_fma_f64 v[92:93], v[142:143], s[24:25], -v[94:95]
	v_mul_f64 v[96:97], v[166:167], s[42:43]
	v_add_f64 v[106:107], v[92:93], v[106:107]
	v_fma_f64 v[92:93], v[140:141], s[6:7], -v[96:97]
	v_mul_f64 v[98:99], v[164:165], s[42:43]
	v_mul_f64 v[50:51], v[164:165], s[46:47]
	v_add_f64 v[92:93], v[92:93], v[108:109]
	v_fma_f64 v[94:95], s[6:7], v[142:143], v[98:99]
	v_mul_f64 v[108:109], v[166:167], s[26:27]
	v_fma_f64 v[46:47], s[12:13], v[142:143], v[50:51]
	v_add_f64 v[94:95], v[94:95], v[110:111]
	v_fma_f64 v[100:101], v[140:141], s[22:23], -v[108:109]
	v_mul_f64 v[110:111], v[164:165], s[26:27]
	v_fmac_f64_e32 v[108:109], s[22:23], v[140:141]
	v_add_f64 v[62:63], v[120:121], v[62:63]
	v_mul_f64 v[48:49], v[166:167], s[46:47]
	v_add_f64 v[46:47], v[46:47], v[146:147]
	v_mul_f64 v[124:125], v[166:167], s[16:17]
	v_add_f64 v[60:61], v[108:109], v[60:61]
	v_fma_f64 v[108:109], v[142:143], s[22:23], -v[110:111]
	v_add_f64 v[146:147], v[38:39], -v[42:43]
	v_fma_f64 v[44:45], v[140:141], s[12:13], -v[48:49]
	v_fmac_f64_e32 v[48:49], s[12:13], v[140:141]
	v_fma_f64 v[120:121], v[140:141], s[14:15], -v[124:125]
	v_fmac_f64_e32 v[124:125], s[14:15], v[140:141]
	v_fmac_f64_e32 v[96:97], s[6:7], v[140:141]
	v_add_f64 v[62:63], v[108:109], v[62:63]
	v_add_f64 v[140:141], v[36:37], v[40:41]
	v_mul_f64 v[108:109], v[146:147], s[48:49]
	v_add_f64 v[44:45], v[44:45], v[144:145]
	v_mul_f64 v[126:127], v[164:165], s[16:17]
	v_fma_f64 v[102:103], s[22:23], v[142:143], v[110:111]
	v_add_f64 v[144:145], v[36:37], -v[40:41]
	v_fma_f64 v[110:111], v[140:141], s[8:9], -v[108:109]
	v_fma_f64 v[50:51], v[142:143], s[12:13], -v[50:51]
	v_fma_f64 v[122:123], s[14:15], v[142:143], v[126:127]
	v_fma_f64 v[126:127], v[142:143], s[14:15], -v[126:127]
	v_fma_f64 v[98:99], v[142:143], s[6:7], -v[98:99]
	v_add_f64 v[142:143], v[38:39], v[42:43]
	v_add_f64 v[52:53], v[110:111], v[52:53]
	v_mul_f64 v[110:111], v[144:145], s[48:49]
	v_fmac_f64_e32 v[108:109], s[8:9], v[140:141]
	v_add_f64 v[56:57], v[108:109], v[56:57]
	v_fma_f64 v[108:109], v[142:143], s[8:9], -v[110:111]
	v_add_f64 v[58:59], v[108:109], v[58:59]
	v_mul_f64 v[108:109], v[146:147], s[40:41]
	v_add_f64 v[96:97], v[96:97], v[112:113]
	v_fma_f64 v[112:113], s[8:9], v[142:143], v[110:111]
	v_fma_f64 v[110:111], v[140:141], s[24:25], -v[108:109]
	v_add_f64 v[64:65], v[110:111], v[64:65]
	v_mul_f64 v[110:111], v[144:145], s[40:41]
	v_fmac_f64_e32 v[108:109], s[24:25], v[140:141]
	v_mul_f64 v[40:41], v[146:147], s[42:43]
	v_add_f64 v[108:109], v[108:109], v[68:69]
	v_fma_f64 v[68:69], v[142:143], s[24:25], -v[110:111]
	v_add_f64 v[48:49], v[48:49], v[148:149]
	v_fma_f64 v[36:37], v[140:141], s[6:7], -v[40:41]
	v_mul_f64 v[42:43], v[144:145], s[42:43]
	v_fmac_f64_e32 v[40:41], s[6:7], v[140:141]
	v_add_f64 v[54:55], v[112:113], v[54:55]
	v_fma_f64 v[112:113], s[24:25], v[142:143], v[110:111]
	v_add_f64 v[110:111], v[68:69], v[70:71]
	v_mul_f64 v[68:69], v[146:147], s[46:47]
	v_add_f64 v[50:51], v[50:51], v[150:151]
	v_fma_f64 v[38:39], s[6:7], v[142:143], v[42:43]
	v_add_f64 v[40:41], v[40:41], v[48:49]
	v_fma_f64 v[42:43], v[142:143], s[6:7], -v[42:43]
	v_mul_f64 v[48:49], v[146:147], s[30:31]
	v_fma_f64 v[70:71], v[140:141], s[12:13], -v[68:69]
	v_add_f64 v[120:121], v[120:121], v[152:153]
	v_add_f64 v[36:37], v[36:37], v[44:45]
	v_add_f64 v[42:43], v[42:43], v[50:51]
	v_fma_f64 v[44:45], v[140:141], s[28:29], -v[48:49]
	v_mul_f64 v[50:51], v[144:145], s[30:31]
	v_add_f64 v[66:67], v[112:113], v[66:67]
	v_add_f64 v[112:113], v[70:71], v[128:129]
	v_mul_f64 v[70:71], v[144:145], s[46:47]
	v_fmac_f64_e32 v[68:69], s[12:13], v[140:141]
	v_add_f64 v[122:123], v[122:123], v[154:155]
	v_add_f64 v[100:101], v[100:101], v[116:117]
	v_add_f64 v[38:39], v[38:39], v[46:47]
	v_add_f64 v[44:45], v[44:45], v[120:121]
	v_fma_f64 v[46:47], s[28:29], v[142:143], v[50:51]
	v_add_f64 v[116:117], v[68:69], v[132:133]
	v_fma_f64 v[68:69], v[142:143], s[12:13], -v[70:71]
	v_mul_f64 v[120:121], v[146:147], s[26:27]
	v_add_f64 v[124:125], v[124:125], v[156:157]
	v_add_f64 v[102:103], v[102:103], v[118:119]
	;; [unrolled: 1-line block ×3, first 2 shown]
	v_fmac_f64_e32 v[48:49], s[28:29], v[140:141]
	v_add_f64 v[118:119], v[68:69], v[134:135]
	v_fma_f64 v[68:69], v[140:141], s[22:23], -v[120:121]
	v_mul_f64 v[122:123], v[144:145], s[26:27]
	v_fmac_f64_e32 v[120:121], s[22:23], v[140:141]
	s_mov_b32 s53, 0x3fe9895b
	s_mov_b32 s52, s16
	v_add_f64 v[48:49], v[48:49], v[124:125]
	v_add_f64 v[104:105], v[120:121], v[104:105]
	v_fma_f64 v[120:121], v[142:143], s[22:23], -v[122:123]
	v_mul_f64 v[124:125], v[146:147], s[52:53]
	v_add_f64 v[106:107], v[120:121], v[106:107]
	v_fma_f64 v[120:121], v[140:141], s[14:15], -v[124:125]
	v_add_f64 v[120:121], v[120:121], v[92:93]
	v_mul_f64 v[92:93], v[144:145], s[52:53]
	v_add_f64 v[126:127], v[126:127], v[158:159]
	v_add_f64 v[98:99], v[98:99], v[114:115]
	v_fma_f64 v[50:51], v[142:143], s[28:29], -v[50:51]
	v_fma_f64 v[114:115], s[12:13], v[142:143], v[70:71]
	v_fma_f64 v[70:71], s[22:23], v[142:143], v[122:123]
	;; [unrolled: 1-line block ×3, first 2 shown]
	v_fma_f64 v[92:93], v[142:143], s[14:15], -v[92:93]
	v_add_f64 v[50:51], v[50:51], v[126:127]
	v_add_f64 v[126:127], v[92:93], v[98:99]
	v_mul_f64 v[92:93], v[146:147], s[38:39]
	v_add_f64 v[122:123], v[122:123], v[94:95]
	v_fma_f64 v[94:95], v[140:141], s[18:19], -v[92:93]
	v_fmac_f64_e32 v[124:125], s[14:15], v[140:141]
	v_add_f64 v[128:129], v[94:95], v[100:101]
	v_mul_f64 v[94:95], v[144:145], s[38:39]
	v_fmac_f64_e32 v[92:93], s[18:19], v[140:141]
	v_add_f64 v[124:125], v[124:125], v[96:97]
	v_fma_f64 v[96:97], s[18:19], v[142:143], v[94:95]
	v_add_f64 v[132:133], v[92:93], v[60:61]
	v_fma_f64 v[60:61], v[142:143], s[18:19], -v[94:95]
	v_add_f64 v[142:143], v[30:31], -v[34:35]
	v_add_f64 v[68:69], v[68:69], v[136:137]
	v_add_f64 v[136:137], v[28:29], v[32:33]
	v_add_f64 v[140:141], v[28:29], -v[32:33]
	v_mul_f64 v[32:33], v[142:143], s[10:11]
	v_add_f64 v[70:71], v[70:71], v[138:139]
	v_add_f64 v[138:139], v[30:31], v[34:35]
	v_fma_f64 v[28:29], v[136:137], s[8:9], -v[32:33]
	v_mul_f64 v[34:35], v[140:141], s[10:11]
	v_fmac_f64_e32 v[32:33], s[8:9], v[136:137]
	v_fma_f64 v[30:31], s[8:9], v[138:139], v[34:35]
	v_add_f64 v[32:33], v[32:33], v[40:41]
	v_fma_f64 v[34:35], v[138:139], s[8:9], -v[34:35]
	v_mul_f64 v[40:41], v[142:143], s[50:51]
	v_add_f64 v[28:29], v[28:29], v[36:37]
	v_add_f64 v[34:35], v[34:35], v[42:43]
	v_fma_f64 v[36:37], v[136:137], s[22:23], -v[40:41]
	v_mul_f64 v[42:43], v[140:141], s[50:51]
	v_fmac_f64_e32 v[40:41], s[22:23], v[136:137]
	v_add_f64 v[30:31], v[30:31], v[38:39]
	v_fma_f64 v[38:39], s[22:23], v[138:139], v[42:43]
	v_add_f64 v[40:41], v[40:41], v[48:49]
	v_fma_f64 v[42:43], v[138:139], s[22:23], -v[42:43]
	v_mul_f64 v[48:49], v[142:143], s[38:39]
	v_add_f64 v[36:37], v[36:37], v[44:45]
	v_add_f64 v[42:43], v[42:43], v[50:51]
	v_fma_f64 v[44:45], v[136:137], s[18:19], -v[48:49]
	v_mul_f64 v[50:51], v[140:141], s[38:39]
	v_fmac_f64_e32 v[48:49], s[18:19], v[136:137]
	v_add_f64 v[38:39], v[38:39], v[46:47]
	v_fma_f64 v[46:47], s[18:19], v[138:139], v[50:51]
	v_add_f64 v[48:49], v[48:49], v[56:57]
	v_fma_f64 v[50:51], v[138:139], s[18:19], -v[50:51]
	v_mul_f64 v[56:57], v[142:143], s[46:47]
	v_add_f64 v[44:45], v[44:45], v[52:53]
	v_add_f64 v[50:51], v[50:51], v[58:59]
	v_fma_f64 v[52:53], v[136:137], s[12:13], -v[56:57]
	v_mul_f64 v[58:59], v[140:141], s[46:47]
	v_add_f64 v[46:47], v[46:47], v[54:55]
	v_add_f64 v[52:53], v[52:53], v[64:65]
	v_fma_f64 v[54:55], s[12:13], v[138:139], v[58:59]
	v_mul_f64 v[64:65], v[142:143], s[30:31]
	v_add_f64 v[134:135], v[60:61], v[62:63]
	v_add_f64 v[54:55], v[54:55], v[66:67]
	v_fma_f64 v[60:61], v[136:137], s[28:29], -v[64:65]
	v_mul_f64 v[66:67], v[140:141], s[30:31]
	v_add_f64 v[114:115], v[114:115], v[130:131]
	v_add_f64 v[60:61], v[60:61], v[112:113]
	v_fma_f64 v[62:63], s[28:29], v[138:139], v[66:67]
	v_add_f64 v[112:113], v[22:23], v[26:27]
	v_add_f64 v[22:23], v[22:23], -v[26:27]
	v_add_f64 v[62:63], v[62:63], v[114:115]
	v_add_f64 v[114:115], v[20:21], v[24:25]
	v_add_f64 v[20:21], v[20:21], -v[24:25]
	v_mul_f64 v[24:25], v[22:23], s[16:17]
	v_fma_f64 v[26:27], v[114:115], s[14:15], -v[24:25]
	v_fmac_f64_e32 v[64:65], s[28:29], v[136:137]
	v_add_f64 v[26:27], v[26:27], v[28:29]
	v_mul_f64 v[28:29], v[20:21], s[16:17]
	v_fmac_f64_e32 v[24:25], s[14:15], v[114:115]
	v_add_f64 v[64:65], v[64:65], v[116:117]
	v_fma_f64 v[116:117], s[14:15], v[112:113], v[28:29]
	v_add_f64 v[24:25], v[24:25], v[32:33]
	v_fma_f64 v[28:29], v[112:113], s[14:15], -v[28:29]
	v_mul_f64 v[32:33], v[22:23], s[48:49]
	v_add_f64 v[28:29], v[28:29], v[34:35]
	v_fma_f64 v[34:35], v[114:115], s[8:9], -v[32:33]
	v_add_f64 v[34:35], v[34:35], v[36:37]
	v_mul_f64 v[36:37], v[20:21], s[48:49]
	v_fmac_f64_e32 v[32:33], s[8:9], v[114:115]
	v_add_f64 v[30:31], v[116:117], v[30:31]
	v_fma_f64 v[116:117], s[8:9], v[112:113], v[36:37]
	v_add_f64 v[32:33], v[32:33], v[40:41]
	v_fma_f64 v[36:37], v[112:113], s[8:9], -v[36:37]
	v_mul_f64 v[40:41], v[22:23], s[36:37]
	v_add_f64 v[36:37], v[36:37], v[42:43]
	v_fma_f64 v[42:43], v[114:115], s[24:25], -v[40:41]
	v_add_f64 v[42:43], v[42:43], v[44:45]
	v_mul_f64 v[44:45], v[20:21], s[36:37]
	v_fmac_f64_e32 v[40:41], s[24:25], v[114:115]
	v_add_f64 v[38:39], v[116:117], v[38:39]
	v_fma_f64 v[116:117], s[24:25], v[112:113], v[44:45]
	v_add_f64 v[40:41], v[40:41], v[48:49]
	v_fma_f64 v[44:45], v[112:113], s[24:25], -v[44:45]
	v_mul_f64 v[48:49], v[22:23], s[26:27]
	v_fmac_f64_e32 v[56:57], s[12:13], v[136:137]
	v_add_f64 v[44:45], v[44:45], v[50:51]
	v_fma_f64 v[50:51], v[114:115], s[22:23], -v[48:49]
	v_add_f64 v[56:57], v[56:57], v[108:109]
	v_fma_f64 v[58:59], v[138:139], s[12:13], -v[58:59]
	s_mov_b32 s35, 0x3fefdd0d
	s_mov_b32 s34, s42
	v_add_f64 v[50:51], v[50:51], v[52:53]
	v_mul_f64 v[52:53], v[20:21], s[26:27]
	v_fmac_f64_e32 v[48:49], s[22:23], v[114:115]
	v_add_f64 v[58:59], v[58:59], v[110:111]
	v_add_f64 v[46:47], v[116:117], v[46:47]
	v_fma_f64 v[116:117], s[22:23], v[112:113], v[52:53]
	v_add_f64 v[48:49], v[48:49], v[56:57]
	v_fma_f64 v[52:53], v[112:113], s[22:23], -v[52:53]
	v_mul_f64 v[56:57], v[22:23], s[34:35]
	v_add_f64 v[52:53], v[52:53], v[58:59]
	v_fma_f64 v[58:59], v[114:115], s[6:7], -v[56:57]
	v_fma_f64 v[66:67], v[138:139], s[28:29], -v[66:67]
	v_mul_f64 v[92:93], v[142:143], s[34:35]
	v_add_f64 v[58:59], v[58:59], v[60:61]
	v_mul_f64 v[60:61], v[20:21], s[34:35]
	v_fmac_f64_e32 v[56:57], s[6:7], v[114:115]
	v_add_f64 v[66:67], v[66:67], v[118:119]
	v_fma_f64 v[94:95], v[136:137], s[6:7], -v[92:93]
	v_add_f64 v[54:55], v[116:117], v[54:55]
	v_fma_f64 v[116:117], s[6:7], v[112:113], v[60:61]
	v_add_f64 v[56:57], v[56:57], v[64:65]
	v_fma_f64 v[60:61], v[112:113], s[6:7], -v[60:61]
	v_mul_f64 v[64:65], v[22:23], s[44:45]
	v_add_f64 v[68:69], v[94:95], v[68:69]
	v_mul_f64 v[94:95], v[140:141], s[34:35]
	v_fmac_f64_e32 v[92:93], s[6:7], v[136:137]
	v_add_f64 v[60:61], v[60:61], v[66:67]
	v_fma_f64 v[66:67], v[114:115], s[18:19], -v[64:65]
	v_add_f64 v[130:131], v[96:97], v[102:103]
	v_fma_f64 v[96:97], s[6:7], v[138:139], v[94:95]
	v_add_f64 v[92:93], v[92:93], v[104:105]
	v_fma_f64 v[94:95], v[138:139], s[6:7], -v[94:95]
	v_mul_f64 v[100:101], v[142:143], s[36:37]
	v_add_f64 v[66:67], v[66:67], v[68:69]
	v_mul_f64 v[68:69], v[20:21], s[44:45]
	v_fmac_f64_e32 v[64:65], s[18:19], v[114:115]
	v_add_f64 v[70:71], v[96:97], v[70:71]
	v_add_f64 v[94:95], v[94:95], v[106:107]
	v_fma_f64 v[96:97], v[136:137], s[24:25], -v[100:101]
	v_add_f64 v[62:63], v[116:117], v[62:63]
	v_fma_f64 v[116:117], s[18:19], v[112:113], v[68:69]
	v_add_f64 v[64:65], v[64:65], v[92:93]
	v_fma_f64 v[68:69], v[112:113], s[18:19], -v[68:69]
	v_mul_f64 v[92:93], v[22:23], s[30:31]
	v_add_f64 v[96:97], v[96:97], v[120:121]
	v_mul_f64 v[102:103], v[140:141], s[36:37]
	v_fmac_f64_e32 v[100:101], s[24:25], v[136:137]
	v_add_f64 v[68:69], v[68:69], v[94:95]
	v_fma_f64 v[94:95], v[114:115], s[28:29], -v[92:93]
	v_fma_f64 v[98:99], s[24:25], v[138:139], v[102:103]
	v_add_f64 v[100:101], v[100:101], v[124:125]
	v_fma_f64 v[102:103], v[138:139], s[24:25], -v[102:103]
	v_mul_f64 v[108:109], v[142:143], s[16:17]
	v_add_f64 v[70:71], v[116:117], v[70:71]
	v_add_f64 v[116:117], v[94:95], v[96:97]
	v_mul_f64 v[94:95], v[20:21], s[30:31]
	v_fmac_f64_e32 v[92:93], s[28:29], v[114:115]
	v_add_f64 v[102:103], v[102:103], v[126:127]
	v_fma_f64 v[104:105], v[136:137], s[14:15], -v[108:109]
	v_mul_f64 v[110:111], v[140:141], s[16:17]
	v_add_f64 v[120:121], v[92:93], v[100:101]
	v_fma_f64 v[92:93], v[112:113], s[28:29], -v[94:95]
	v_mul_f64 v[22:23], v[22:23], s[20:21]
	v_add_f64 v[98:99], v[98:99], v[122:123]
	v_add_f64 v[104:105], v[104:105], v[128:129]
	v_fma_f64 v[106:107], s[14:15], v[138:139], v[110:111]
	v_fma_f64 v[110:111], v[138:139], s[14:15], -v[110:111]
	v_add_f64 v[122:123], v[92:93], v[102:103]
	v_fma_f64 v[92:93], v[114:115], s[12:13], -v[22:23]
	v_mul_f64 v[20:21], v[20:21], s[20:21]
	v_add_f64 v[126:127], v[14:15], -v[18:19]
	v_fmac_f64_e32 v[108:109], s[14:15], v[136:137]
	v_add_f64 v[110:111], v[110:111], v[134:135]
	v_fma_f64 v[96:97], s[28:29], v[112:113], v[94:95]
	v_add_f64 v[104:105], v[92:93], v[104:105]
	v_fma_f64 v[92:93], s[12:13], v[112:113], v[20:21]
	v_fma_f64 v[20:21], v[112:113], s[12:13], -v[20:21]
	v_add_f64 v[112:113], v[12:13], v[16:17]
	v_add_f64 v[124:125], v[12:13], -v[16:17]
	v_mul_f64 v[12:13], v[126:127], s[26:27]
	v_add_f64 v[108:109], v[108:109], v[132:133]
	v_fmac_f64_e32 v[22:23], s[12:13], v[114:115]
	v_add_f64 v[110:111], v[20:21], v[110:111]
	v_add_f64 v[114:115], v[14:15], v[18:19]
	v_fma_f64 v[14:15], v[112:113], s[22:23], -v[12:13]
	v_mul_f64 v[20:21], v[126:127], s[42:43]
	v_add_f64 v[108:109], v[22:23], v[108:109]
	v_add_f64 v[102:103], v[14:15], v[26:27]
	v_mul_f64 v[14:15], v[124:125], s[26:27]
	v_fmac_f64_e32 v[12:13], s[22:23], v[112:113]
	v_fma_f64 v[22:23], v[112:113], s[6:7], -v[20:21]
	v_add_f64 v[118:119], v[96:97], v[98:99]
	v_add_f64 v[98:99], v[12:13], v[24:25]
	v_fma_f64 v[12:13], v[114:115], s[22:23], -v[14:15]
	v_add_f64 v[24:25], v[22:23], v[42:43]
	v_mul_f64 v[22:23], v[124:125], s[42:43]
	v_add_f64 v[96:97], v[12:13], v[28:29]
	v_mul_f64 v[12:13], v[126:127], s[20:21]
	v_fma_f64 v[26:27], s[6:7], v[114:115], v[22:23]
	v_fma_f64 v[22:23], v[114:115], s[6:7], -v[22:23]
	v_fma_f64 v[16:17], s[22:23], v[114:115], v[14:15]
	v_fma_f64 v[14:15], v[112:113], s[12:13], -v[12:13]
	v_add_f64 v[22:23], v[22:23], v[44:45]
	v_mul_f64 v[44:45], v[126:127], s[30:31]
	v_add_f64 v[100:101], v[16:17], v[30:31]
	v_add_f64 v[16:17], v[14:15], v[34:35]
	v_mul_f64 v[14:15], v[124:125], s[20:21]
	v_add_f64 v[26:27], v[26:27], v[46:47]
	v_mul_f64 v[28:29], v[126:127], s[52:53]
	v_fma_f64 v[46:47], v[112:113], s[28:29], -v[44:45]
	v_fma_f64 v[18:19], s[12:13], v[114:115], v[14:15]
	v_fma_f64 v[14:15], v[114:115], s[12:13], -v[14:15]
	v_fma_f64 v[30:31], v[112:113], s[14:15], -v[28:29]
	v_fmac_f64_e32 v[28:29], s[14:15], v[112:113]
	v_add_f64 v[94:95], v[46:47], v[66:67]
	v_mul_f64 v[46:47], v[124:125], s[30:31]
	v_add_f64 v[106:107], v[106:107], v[130:131]
	v_add_f64 v[14:15], v[14:15], v[36:37]
	;; [unrolled: 1-line block ×3, first 2 shown]
	v_mul_f64 v[36:37], v[126:127], s[36:37]
	v_fma_f64 v[48:49], s[28:29], v[114:115], v[46:47]
	v_fmac_f64_e32 v[44:45], s[28:29], v[112:113]
	v_add_f64 v[106:107], v[92:93], v[106:107]
	v_add_f64 v[18:19], v[18:19], v[38:39]
	v_fmac_f64_e32 v[20:21], s[6:7], v[112:113]
	v_fma_f64 v[38:39], v[112:113], s[24:25], -v[36:37]
	v_add_f64 v[92:93], v[48:49], v[70:71]
	v_add_f64 v[70:71], v[44:45], v[64:65]
	v_fma_f64 v[44:45], v[114:115], s[28:29], -v[46:47]
	v_fmac_f64_e32 v[12:13], s[12:13], v[112:113]
	v_add_f64 v[20:21], v[20:21], v[40:41]
	v_add_f64 v[40:41], v[38:39], v[58:59]
	v_mul_f64 v[38:39], v[124:125], s[36:37]
	v_add_f64 v[68:69], v[44:45], v[68:69]
	v_mul_f64 v[44:45], v[126:127], s[38:39]
	v_add_f64 v[12:13], v[12:13], v[32:33]
	v_add_f64 v[32:33], v[30:31], v[50:51]
	v_mul_f64 v[30:31], v[124:125], s[52:53]
	v_fma_f64 v[42:43], s[24:25], v[114:115], v[38:39]
	v_fma_f64 v[46:47], v[112:113], s[18:19], -v[44:45]
	v_fma_f64 v[34:35], s[14:15], v[114:115], v[30:31]
	v_add_f64 v[42:43], v[42:43], v[62:63]
	v_add_f64 v[62:63], v[46:47], v[116:117]
	v_mul_f64 v[46:47], v[124:125], s[38:39]
	v_fmac_f64_e32 v[44:45], s[18:19], v[112:113]
	v_add_f64 v[34:35], v[34:35], v[54:55]
	v_fma_f64 v[30:31], v[114:115], s[14:15], -v[30:31]
	v_add_f64 v[54:55], v[44:45], v[120:121]
	v_fma_f64 v[44:45], v[114:115], s[18:19], -v[46:47]
	v_add_f64 v[30:31], v[30:31], v[52:53]
	v_fmac_f64_e32 v[36:37], s[24:25], v[112:113]
	v_add_f64 v[52:53], v[44:45], v[122:123]
	v_mul_f64 v[44:45], v[126:127], s[10:11]
	v_add_f64 v[36:37], v[36:37], v[56:57]
	v_fma_f64 v[48:49], s[18:19], v[114:115], v[46:47]
	v_fma_f64 v[46:47], v[112:113], s[8:9], -v[44:45]
	v_mul_f64 v[56:57], v[124:125], s[10:11]
	v_add_f64 v[66:67], v[6:7], -v[10:11]
	v_fma_f64 v[38:39], v[114:115], s[24:25], -v[38:39]
	v_add_f64 v[50:51], v[46:47], v[104:105]
	v_fma_f64 v[46:47], s[8:9], v[114:115], v[56:57]
	v_fmac_f64_e32 v[44:45], s[8:9], v[112:113]
	v_add_f64 v[58:59], v[4:5], v[8:9]
	v_add_f64 v[64:65], v[4:5], -v[8:9]
	v_mul_f64 v[4:5], v[66:67], s[30:31]
	v_add_f64 v[38:39], v[38:39], v[60:61]
	v_add_f64 v[60:61], v[48:49], v[118:119]
	v_add_f64 v[48:49], v[46:47], v[106:107]
	v_add_f64 v[46:47], v[44:45], v[108:109]
	v_fma_f64 v[44:45], v[114:115], s[8:9], -v[56:57]
	v_add_f64 v[56:57], v[6:7], v[10:11]
	v_fma_f64 v[6:7], v[58:59], s[28:29], -v[4:5]
	v_add_f64 v[8:9], v[6:7], v[102:103]
	v_mul_f64 v[6:7], v[64:65], s[30:31]
	v_fma_f64 v[10:11], s[28:29], v[56:57], v[6:7]
	v_fma_f64 v[6:7], v[56:57], s[28:29], -v[6:7]
	v_fmac_f64_e32 v[4:5], s[28:29], v[58:59]
	v_add_f64 v[6:7], v[6:7], v[96:97]
	v_mul_f64 v[96:97], v[66:67], s[40:41]
	v_add_f64 v[4:5], v[4:5], v[98:99]
	v_fma_f64 v[98:99], v[58:59], s[24:25], -v[96:97]
	v_add_f64 v[16:17], v[98:99], v[16:17]
	v_mul_f64 v[98:99], v[64:65], s[40:41]
	v_fmac_f64_e32 v[96:97], s[24:25], v[58:59]
	v_add_f64 v[12:13], v[96:97], v[12:13]
	v_fma_f64 v[96:97], v[56:57], s[24:25], -v[98:99]
	v_add_f64 v[14:15], v[96:97], v[14:15]
	v_mul_f64 v[96:97], v[66:67], s[26:27]
	v_add_f64 v[10:11], v[10:11], v[100:101]
	v_fma_f64 v[100:101], s[24:25], v[56:57], v[98:99]
	v_fma_f64 v[98:99], v[58:59], s[22:23], -v[96:97]
	v_add_f64 v[24:25], v[98:99], v[24:25]
	v_mul_f64 v[98:99], v[64:65], s[26:27]
	v_fmac_f64_e32 v[96:97], s[22:23], v[58:59]
	v_add_f64 v[20:21], v[96:97], v[20:21]
	v_fma_f64 v[96:97], v[56:57], s[22:23], -v[98:99]
	v_add_f64 v[22:23], v[96:97], v[22:23]
	v_mul_f64 v[96:97], v[66:67], s[38:39]
	v_add_f64 v[18:19], v[100:101], v[18:19]
	v_fma_f64 v[100:101], s[22:23], v[56:57], v[98:99]
	;; [unrolled: 10-line block ×3, first 2 shown]
	v_fma_f64 v[98:99], v[58:59], s[14:15], -v[96:97]
	v_add_f64 v[40:41], v[98:99], v[40:41]
	v_mul_f64 v[98:99], v[64:65], s[16:17]
	v_fmac_f64_e32 v[96:97], s[14:15], v[58:59]
	v_add_f64 v[34:35], v[100:101], v[34:35]
	v_fma_f64 v[100:101], s[14:15], v[56:57], v[98:99]
	v_add_f64 v[36:37], v[96:97], v[36:37]
	v_fma_f64 v[96:97], v[56:57], s[14:15], -v[98:99]
	v_mul_f64 v[98:99], v[66:67], s[20:21]
	v_add_f64 v[42:43], v[100:101], v[42:43]
	v_add_f64 v[38:39], v[96:97], v[38:39]
	v_fma_f64 v[96:97], v[58:59], s[12:13], -v[98:99]
	v_mul_f64 v[100:101], v[64:65], s[20:21]
	v_add_f64 v[94:95], v[96:97], v[94:95]
	v_fma_f64 v[96:97], s[12:13], v[56:57], v[100:101]
	v_fmac_f64_e32 v[98:99], s[12:13], v[58:59]
	v_add_f64 v[96:97], v[96:97], v[92:93]
	v_add_f64 v[98:99], v[98:99], v[70:71]
	v_fma_f64 v[70:71], v[56:57], s[12:13], -v[100:101]
	v_mul_f64 v[92:93], v[66:67], s[10:11]
	v_add_f64 v[100:101], v[70:71], v[68:69]
	v_fma_f64 v[68:69], v[58:59], s[8:9], -v[92:93]
	v_add_f64 v[68:69], v[68:69], v[62:63]
	v_mul_f64 v[62:63], v[64:65], s[10:11]
	v_fma_f64 v[70:71], s[8:9], v[56:57], v[62:63]
	v_fmac_f64_e32 v[92:93], s[8:9], v[58:59]
	v_add_f64 v[70:71], v[70:71], v[60:61]
	v_add_f64 v[60:61], v[92:93], v[54:55]
	v_fma_f64 v[54:55], v[56:57], s[8:9], -v[62:63]
	v_add_f64 v[62:63], v[54:55], v[52:53]
	v_mul_f64 v[54:55], v[66:67], s[34:35]
	v_fma_f64 v[52:53], v[58:59], s[6:7], -v[54:55]
	v_mul_f64 v[64:65], v[64:65], s[34:35]
	v_add_f64 v[50:51], v[52:53], v[50:51]
	v_fma_f64 v[52:53], s[6:7], v[56:57], v[64:65]
	v_add_f64 v[44:45], v[44:45], v[110:111]
	v_add_f64 v[52:53], v[52:53], v[48:49]
	v_fma_f64 v[48:49], v[56:57], s[6:7], -v[64:65]
	s_movk_i32 s2, 0x110
	v_fmac_f64_e32 v[54:55], s[6:7], v[58:59]
	v_add_f64 v[48:49], v[48:49], v[44:45]
	v_mad_u32_u24 v44, v72, s2, v161
	v_subrev_u32_e32 v92, 17, v72
	v_cmp_gt_u32_e64 s[2:3], 17, v72
	v_add_f64 v[46:47], v[54:55], v[46:47]
	s_barrier
	ds_write_b128 v44, v[0:3]
	ds_write_b128 v44, v[8:11] offset:16
	ds_write_b128 v44, v[16:19] offset:32
	;; [unrolled: 1-line block ×16, first 2 shown]
	v_cndmask_b32_e64 v0, v92, v72, s[2:3]
	v_mov_b32_e32 v73, 0
	v_lshlrev_b32_e32 v56, 4, v0
	v_mov_b32_e32 v57, v73
	v_lshl_add_u64 v[4:5], v[56:57], 4, s[4:5]
	s_waitcnt lgkmcnt(0)
	s_barrier
	global_load_dwordx4 v[16:19], v[4:5], off
	global_load_dwordx4 v[12:15], v[4:5], off offset:16
	global_load_dwordx4 v[8:11], v[4:5], off offset:32
	;; [unrolled: 1-line block ×13, first 2 shown]
	v_lshl_add_u32 v111, v88, 4, v161
	ds_read_b128 v[24:27], v111
	global_load_dwordx4 v[116:119], v[4:5], off offset:240
	global_load_dwordx4 v[120:123], v[4:5], off offset:224
	v_lshl_add_u32 v110, v90, 4, v161
	v_lshl_add_u32 v109, v86, 4, v161
	ds_read_b128 v[32:35], v110
	ds_read_b128 v[40:43], v109
	v_lshl_add_u32 v108, v84, 4, v161
	v_lshl_add_u32 v107, v82, 4, v161
	ds_read_b128 v[124:127], v108
	ds_read_b128 v[128:131], v107
	;; [unrolled: 4-line block ×3, first 2 shown]
	v_lshl_add_u32 v104, v76, 4, v161
	ds_read_b128 v[140:143], v104
	ds_read_b128 v[4:7], v160
	ds_read_b128 v[144:147], v162 offset:4896
	ds_read_b128 v[148:151], v162 offset:5440
	;; [unrolled: 1-line block ×8, first 2 shown]
	v_mov_b32_e32 v57, 0x1210
	v_cmp_lt_u32_e32 vcc, 16, v72
	s_waitcnt lgkmcnt(0)
	s_barrier
	v_cndmask_b32_e32 v57, 0, v57, vcc
	v_add_u32_e32 v57, 0, v57
	v_add3_u32 v56, v57, v56, v79
	s_waitcnt vmcnt(15)
	v_mul_f64 v[48:49], v[26:27], v[18:19]
	v_mul_f64 v[102:103], v[24:25], v[18:19]
	v_fma_f64 v[70:71], v[24:25], v[16:17], -v[48:49]
	v_fmac_f64_e32 v[102:103], v[26:27], v[16:17]
	s_waitcnt vmcnt(14)
	v_mul_f64 v[16:17], v[34:35], v[14:15]
	v_mul_f64 v[58:59], v[32:33], v[14:15]
	v_fma_f64 v[60:61], v[32:33], v[12:13], -v[16:17]
	v_fmac_f64_e32 v[58:59], v[34:35], v[12:13]
	;; [unrolled: 5-line block ×4, first 2 shown]
	s_waitcnt vmcnt(11)
	v_mul_f64 v[0:1], v[130:131], v[22:23]
	v_fma_f64 v[34:35], v[128:129], v[20:21], -v[0:1]
	s_waitcnt vmcnt(10)
	v_mul_f64 v[0:1], v[134:135], v[30:31]
	v_fma_f64 v[26:27], v[132:133], v[28:29], -v[0:1]
	;; [unrolled: 3-line block ×5, first 2 shown]
	s_waitcnt vmcnt(6)
	v_mul_f64 v[0:1], v[150:151], v[64:65]
	v_mul_f64 v[32:33], v[128:129], v[22:23]
	v_fma_f64 v[22:23], v[148:149], v[62:63], -v[0:1]
	s_waitcnt vmcnt(5)
	v_mul_f64 v[0:1], v[154:155], v[68:69]
	v_mul_f64 v[24:25], v[132:133], v[30:31]
	v_fma_f64 v[30:31], v[152:153], v[66:67], -v[0:1]
	;; [unrolled: 4-line block ×5, first 2 shown]
	s_waitcnt vmcnt(0)
	v_mul_f64 v[0:1], v[178:179], v[122:123]
	v_fmac_f64_e32 v[32:33], v[130:131], v[20:21]
	v_fmac_f64_e32 v[24:25], v[134:135], v[28:29]
	v_mul_f64 v[20:21], v[148:149], v[64:65]
	v_mul_f64 v[28:29], v[152:153], v[68:69]
	v_fma_f64 v[64:65], v[176:177], v[120:121], -v[0:1]
	v_mul_f64 v[0:1], v[170:171], v[118:119]
	v_fmac_f64_e32 v[28:29], v[154:155], v[66:67]
	v_fma_f64 v[66:67], v[168:169], v[116:117], -v[0:1]
	v_add_f64 v[0:1], v[4:5], v[70:71]
	v_add_f64 v[2:3], v[6:7], v[102:103]
	;; [unrolled: 1-line block ×10, first 2 shown]
	v_fmac_f64_e32 v[16:17], v[138:139], v[36:37]
	v_add_f64 v[0:1], v[0:1], v[26:27]
	v_add_f64 v[2:3], v[2:3], v[24:25]
	v_fmac_f64_e32 v[8:9], v[142:143], v[44:45]
	v_add_f64 v[0:1], v[0:1], v[18:19]
	v_add_f64 v[2:3], v[2:3], v[16:17]
	;; [unrolled: 3-line block ×4, first 2 shown]
	v_mul_f64 v[36:37], v[156:157], v[96:97]
	v_add_f64 v[0:1], v[0:1], v[22:23]
	v_add_f64 v[2:3], v[2:3], v[20:21]
	v_fmac_f64_e32 v[36:37], v[158:159], v[94:95]
	v_mul_f64 v[44:45], v[164:165], v[100:101]
	v_add_f64 v[0:1], v[0:1], v[30:31]
	v_add_f64 v[2:3], v[2:3], v[28:29]
	v_fmac_f64_e32 v[44:45], v[166:167], v[98:99]
	;; [unrolled: 4-line block ×5, first 2 shown]
	v_add_f64 v[0:1], v[0:1], v[64:65]
	v_add_f64 v[2:3], v[2:3], v[62:63]
	;; [unrolled: 1-line block ×6, first 2 shown]
	v_add_f64 v[66:67], v[70:71], -v[66:67]
	v_add_f64 v[68:69], v[102:103], -v[68:69]
	v_mul_f64 v[70:71], v[68:69], s[36:37]
	v_mul_f64 v[100:101], v[66:67], s[36:37]
	;; [unrolled: 1-line block ×15, first 2 shown]
	v_fma_f64 v[98:99], v[94:95], s[24:25], -v[70:71]
	v_fma_f64 v[102:103], s[24:25], v[96:97], v[100:101]
	v_fmac_f64_e32 v[70:71], s[24:25], v[94:95]
	v_fma_f64 v[114:115], v[94:95], s[18:19], -v[112:113]
	v_fma_f64 v[118:119], s[18:19], v[96:97], v[116:117]
	v_fmac_f64_e32 v[112:113], s[18:19], v[94:95]
	;; [unrolled: 3-line block ×6, first 2 shown]
	v_fma_f64 v[154:155], v[94:95], s[22:23], -v[152:153]
	v_fmac_f64_e32 v[152:153], s[22:23], v[94:95]
	v_fma_f64 v[158:159], v[94:95], s[28:29], -v[68:69]
	v_fmac_f64_e32 v[68:69], s[28:29], v[94:95]
	v_fma_f64 v[94:95], s[22:23], v[96:97], v[156:157]
	v_fma_f64 v[156:157], v[96:97], s[22:23], -v[156:157]
	v_mul_f64 v[66:67], v[66:67], s[30:31]
	v_fma_f64 v[100:101], v[96:97], s[24:25], -v[100:101]
	v_fma_f64 v[116:117], v[96:97], s[18:19], -v[116:117]
	;; [unrolled: 1-line block ×6, first 2 shown]
	v_fma_f64 v[164:165], s[28:29], v[96:97], v[66:67]
	v_fma_f64 v[66:67], v[96:97], s[28:29], -v[66:67]
	v_add_f64 v[96:97], v[4:5], v[98:99]
	v_add_f64 v[98:99], v[6:7], v[102:103]
	;; [unrolled: 1-line block ×24, first 2 shown]
	v_add_f64 v[58:59], v[58:59], -v[62:63]
	v_add_f64 v[100:101], v[6:7], v[100:101]
	v_add_f64 v[116:117], v[6:7], v[116:117]
	;; [unrolled: 1-line block ×10, first 2 shown]
	v_mul_f64 v[62:63], v[58:59], s[44:45]
	v_add_f64 v[60:61], v[60:61], -v[64:65]
	v_fma_f64 v[64:65], v[66:67], s[18:19], -v[62:63]
	v_add_f64 v[64:65], v[64:65], v[96:97]
	v_mul_f64 v[96:97], v[60:61], s[44:45]
	v_fmac_f64_e32 v[62:63], s[18:19], v[66:67]
	v_fma_f64 v[164:165], s[18:19], v[68:69], v[96:97]
	v_add_f64 v[62:63], v[62:63], v[70:71]
	v_fma_f64 v[70:71], v[68:69], s[18:19], -v[96:97]
	v_mul_f64 v[96:97], v[58:59], s[42:43]
	v_add_f64 v[70:71], v[70:71], v[100:101]
	v_fma_f64 v[100:101], v[66:67], s[6:7], -v[96:97]
	v_add_f64 v[100:101], v[100:101], v[102:103]
	v_mul_f64 v[102:103], v[60:61], s[42:43]
	v_fmac_f64_e32 v[96:97], s[6:7], v[66:67]
	v_add_f64 v[98:99], v[164:165], v[98:99]
	v_fma_f64 v[164:165], s[6:7], v[68:69], v[102:103]
	v_add_f64 v[96:97], v[96:97], v[112:113]
	v_fma_f64 v[102:103], v[68:69], s[6:7], -v[102:103]
	v_mul_f64 v[112:113], v[58:59], s[16:17]
	v_add_f64 v[102:103], v[102:103], v[116:117]
	v_fma_f64 v[116:117], v[66:67], s[14:15], -v[112:113]
	v_add_f64 v[116:117], v[116:117], v[118:119]
	v_mul_f64 v[118:119], v[60:61], s[16:17]
	v_fmac_f64_e32 v[112:113], s[14:15], v[66:67]
	v_add_f64 v[114:115], v[164:165], v[114:115]
	;; [unrolled: 10-line block ×5, first 2 shown]
	v_fma_f64 v[164:165], s[8:9], v[68:69], v[142:143]
	v_add_f64 v[136:137], v[136:137], v[144:145]
	v_fma_f64 v[142:143], v[68:69], s[8:9], -v[142:143]
	v_mul_f64 v[144:145], v[58:59], s[20:21]
	v_add_f64 v[142:143], v[142:143], v[148:149]
	v_fma_f64 v[148:149], v[66:67], s[12:13], -v[144:145]
	v_add_f64 v[148:149], v[148:149], v[150:151]
	v_mul_f64 v[150:151], v[60:61], s[20:21]
	v_fmac_f64_e32 v[144:145], s[12:13], v[66:67]
	v_mul_f64 v[58:59], v[58:59], s[40:41]
	v_add_f64 v[146:147], v[164:165], v[146:147]
	v_fma_f64 v[164:165], s[12:13], v[68:69], v[150:151]
	v_add_f64 v[144:145], v[144:145], v[152:153]
	v_fma_f64 v[150:151], v[68:69], s[12:13], -v[150:151]
	v_fma_f64 v[152:153], v[66:67], s[24:25], -v[58:59]
	v_mul_f64 v[60:61], v[60:61], s[40:41]
	v_fmac_f64_e32 v[58:59], s[24:25], v[66:67]
	v_add_f64 v[150:151], v[150:151], v[154:155]
	v_fma_f64 v[154:155], s[24:25], v[68:69], v[60:61]
	v_add_f64 v[4:5], v[58:59], v[4:5]
	v_fma_f64 v[58:59], v[68:69], s[24:25], -v[60:61]
	v_add_f64 v[60:61], v[48:49], v[52:53]
	v_add_f64 v[48:49], v[48:49], -v[52:53]
	v_add_f64 v[6:7], v[58:59], v[6:7]
	v_add_f64 v[58:59], v[50:51], v[54:55]
	v_mul_f64 v[52:53], v[48:49], s[46:47]
	v_add_f64 v[50:51], v[50:51], -v[54:55]
	v_fma_f64 v[54:55], v[58:59], s[12:13], -v[52:53]
	v_add_f64 v[54:55], v[54:55], v[64:65]
	v_mul_f64 v[64:65], v[50:51], s[46:47]
	v_fmac_f64_e32 v[52:53], s[12:13], v[58:59]
	v_fma_f64 v[66:67], s[12:13], v[60:61], v[64:65]
	v_add_f64 v[52:53], v[52:53], v[62:63]
	v_fma_f64 v[62:63], v[60:61], s[12:13], -v[64:65]
	v_mul_f64 v[64:65], v[48:49], s[16:17]
	v_add_f64 v[62:63], v[62:63], v[70:71]
	v_fma_f64 v[68:69], v[58:59], s[14:15], -v[64:65]
	v_mul_f64 v[70:71], v[50:51], s[16:17]
	v_fmac_f64_e32 v[64:65], s[14:15], v[58:59]
	v_add_f64 v[66:67], v[66:67], v[98:99]
	v_fma_f64 v[98:99], s[14:15], v[60:61], v[70:71]
	v_add_f64 v[64:65], v[64:65], v[96:97]
	v_fma_f64 v[70:71], v[60:61], s[14:15], -v[70:71]
	v_mul_f64 v[96:97], v[48:49], s[54:55]
	v_add_f64 v[68:69], v[68:69], v[100:101]
	v_add_f64 v[70:71], v[70:71], v[102:103]
	v_fma_f64 v[100:101], v[58:59], s[28:29], -v[96:97]
	v_mul_f64 v[102:103], v[50:51], s[54:55]
	v_fmac_f64_e32 v[96:97], s[28:29], v[58:59]
	v_add_f64 v[98:99], v[98:99], v[114:115]
	v_fma_f64 v[114:115], s[28:29], v[60:61], v[102:103]
	v_add_f64 v[96:97], v[96:97], v[112:113]
	v_fma_f64 v[102:103], v[60:61], s[28:29], -v[102:103]
	v_mul_f64 v[112:113], v[48:49], s[48:49]
	v_add_f64 v[100:101], v[100:101], v[116:117]
	;; [unrolled: 10-line block ×5, first 2 shown]
	v_add_f64 v[134:135], v[134:135], v[142:143]
	v_fma_f64 v[140:141], v[58:59], s[6:7], -v[136:137]
	v_mul_f64 v[142:143], v[50:51], s[42:43]
	v_fmac_f64_e32 v[136:137], s[6:7], v[58:59]
	v_mul_f64 v[48:49], v[48:49], s[26:27]
	v_add_f64 v[94:95], v[164:165], v[94:95]
	v_add_f64 v[138:139], v[138:139], v[146:147]
	v_fma_f64 v[146:147], s[6:7], v[60:61], v[142:143]
	v_add_f64 v[136:137], v[136:137], v[144:145]
	v_fma_f64 v[144:145], v[58:59], s[22:23], -v[48:49]
	v_mul_f64 v[50:51], v[50:51], s[26:27]
	v_fmac_f64_e32 v[48:49], s[22:23], v[58:59]
	v_add_f64 v[94:95], v[146:147], v[94:95]
	v_fma_f64 v[146:147], s[22:23], v[60:61], v[50:51]
	v_add_f64 v[4:5], v[48:49], v[4:5]
	v_fma_f64 v[48:49], v[60:61], s[22:23], -v[50:51]
	v_add_f64 v[50:51], v[40:41], v[44:45]
	v_add_f64 v[40:41], v[40:41], -v[44:45]
	v_add_f64 v[6:7], v[48:49], v[6:7]
	v_add_f64 v[48:49], v[42:43], v[46:47]
	v_mul_f64 v[44:45], v[40:41], s[42:43]
	v_add_f64 v[42:43], v[42:43], -v[46:47]
	v_fma_f64 v[46:47], v[48:49], s[6:7], -v[44:45]
	v_add_f64 v[46:47], v[46:47], v[54:55]
	v_mul_f64 v[54:55], v[42:43], s[42:43]
	v_fmac_f64_e32 v[44:45], s[6:7], v[48:49]
	v_fma_f64 v[58:59], s[6:7], v[50:51], v[54:55]
	v_add_f64 v[44:45], v[44:45], v[52:53]
	v_fma_f64 v[52:53], v[50:51], s[6:7], -v[54:55]
	v_mul_f64 v[54:55], v[40:41], s[30:31]
	v_fma_f64 v[142:143], v[60:61], s[6:7], -v[142:143]
	v_add_f64 v[52:53], v[52:53], v[62:63]
	v_fma_f64 v[60:61], v[48:49], s[28:29], -v[54:55]
	v_mul_f64 v[62:63], v[42:43], s[30:31]
	v_fmac_f64_e32 v[54:55], s[28:29], v[48:49]
	v_add_f64 v[58:59], v[58:59], v[66:67]
	v_fma_f64 v[66:67], s[28:29], v[50:51], v[62:63]
	v_add_f64 v[54:55], v[54:55], v[64:65]
	v_fma_f64 v[62:63], v[50:51], s[28:29], -v[62:63]
	v_mul_f64 v[64:65], v[40:41], s[48:49]
	v_add_f64 v[60:61], v[60:61], v[68:69]
	v_add_f64 v[62:63], v[62:63], v[70:71]
	v_fma_f64 v[68:69], v[48:49], s[8:9], -v[64:65]
	v_mul_f64 v[70:71], v[42:43], s[48:49]
	v_fmac_f64_e32 v[64:65], s[8:9], v[48:49]
	v_add_f64 v[66:67], v[66:67], v[98:99]
	v_fma_f64 v[98:99], s[8:9], v[50:51], v[70:71]
	v_add_f64 v[64:65], v[64:65], v[96:97]
	v_fma_f64 v[70:71], v[50:51], s[8:9], -v[70:71]
	v_mul_f64 v[96:97], v[40:41], s[40:41]
	v_add_f64 v[68:69], v[68:69], v[100:101]
	;; [unrolled: 10-line block ×5, first 2 shown]
	v_add_f64 v[126:127], v[126:127], v[134:135]
	v_fma_f64 v[132:133], v[48:49], s[14:15], -v[128:129]
	v_mul_f64 v[134:135], v[42:43], s[52:53]
	v_fmac_f64_e32 v[128:129], s[14:15], v[48:49]
	v_mul_f64 v[40:41], v[40:41], s[38:39]
	v_add_f64 v[130:131], v[130:131], v[138:139]
	v_fma_f64 v[138:139], s[14:15], v[50:51], v[134:135]
	v_add_f64 v[128:129], v[128:129], v[136:137]
	v_fma_f64 v[136:137], v[48:49], s[18:19], -v[40:41]
	v_mul_f64 v[42:43], v[42:43], s[38:39]
	v_fmac_f64_e32 v[40:41], s[18:19], v[48:49]
	v_add_f64 v[94:95], v[138:139], v[94:95]
	v_fma_f64 v[138:139], s[18:19], v[50:51], v[42:43]
	v_add_f64 v[4:5], v[40:41], v[4:5]
	v_fma_f64 v[40:41], v[50:51], s[18:19], -v[42:43]
	v_add_f64 v[42:43], v[32:33], v[36:37]
	v_add_f64 v[32:33], v[32:33], -v[36:37]
	v_add_f64 v[6:7], v[40:41], v[6:7]
	v_add_f64 v[40:41], v[34:35], v[38:39]
	v_mul_f64 v[36:37], v[32:33], s[10:11]
	v_add_f64 v[34:35], v[34:35], -v[38:39]
	v_fma_f64 v[38:39], v[40:41], s[8:9], -v[36:37]
	v_add_f64 v[38:39], v[38:39], v[46:47]
	v_mul_f64 v[46:47], v[34:35], s[10:11]
	v_fmac_f64_e32 v[36:37], s[8:9], v[40:41]
	v_fma_f64 v[48:49], s[8:9], v[42:43], v[46:47]
	v_add_f64 v[36:37], v[36:37], v[44:45]
	v_fma_f64 v[44:45], v[42:43], s[8:9], -v[46:47]
	v_mul_f64 v[46:47], v[32:33], s[50:51]
	v_fma_f64 v[134:135], v[50:51], s[14:15], -v[134:135]
	v_add_f64 v[44:45], v[44:45], v[52:53]
	v_fma_f64 v[50:51], v[40:41], s[22:23], -v[46:47]
	v_mul_f64 v[52:53], v[34:35], s[50:51]
	v_fmac_f64_e32 v[46:47], s[22:23], v[40:41]
	v_add_f64 v[48:49], v[48:49], v[58:59]
	v_fma_f64 v[58:59], s[22:23], v[42:43], v[52:53]
	v_add_f64 v[46:47], v[46:47], v[54:55]
	v_fma_f64 v[52:53], v[42:43], s[22:23], -v[52:53]
	v_mul_f64 v[54:55], v[32:33], s[38:39]
	v_add_f64 v[50:51], v[50:51], v[60:61]
	v_add_f64 v[52:53], v[52:53], v[62:63]
	v_fma_f64 v[60:61], v[40:41], s[18:19], -v[54:55]
	v_mul_f64 v[62:63], v[34:35], s[38:39]
	v_fmac_f64_e32 v[54:55], s[18:19], v[40:41]
	v_add_f64 v[58:59], v[58:59], v[66:67]
	v_fma_f64 v[66:67], s[18:19], v[42:43], v[62:63]
	v_add_f64 v[54:55], v[54:55], v[64:65]
	v_fma_f64 v[62:63], v[42:43], s[18:19], -v[62:63]
	v_mul_f64 v[64:65], v[32:33], s[46:47]
	v_add_f64 v[60:61], v[60:61], v[68:69]
	;; [unrolled: 10-line block ×5, first 2 shown]
	v_add_f64 v[118:119], v[118:119], v[126:127]
	v_fma_f64 v[124:125], v[40:41], s[24:25], -v[120:121]
	v_mul_f64 v[126:127], v[34:35], s[36:37]
	v_fmac_f64_e32 v[120:121], s[24:25], v[40:41]
	v_mul_f64 v[32:33], v[32:33], s[16:17]
	v_add_f64 v[122:123], v[122:123], v[130:131]
	v_fma_f64 v[130:131], s[24:25], v[42:43], v[126:127]
	v_add_f64 v[120:121], v[120:121], v[128:129]
	v_fma_f64 v[128:129], v[40:41], s[14:15], -v[32:33]
	v_mul_f64 v[34:35], v[34:35], s[16:17]
	v_fmac_f64_e32 v[32:33], s[14:15], v[40:41]
	v_add_f64 v[94:95], v[130:131], v[94:95]
	v_fma_f64 v[130:131], s[14:15], v[42:43], v[34:35]
	v_add_f64 v[4:5], v[32:33], v[4:5]
	v_fma_f64 v[32:33], v[42:43], s[14:15], -v[34:35]
	v_add_f64 v[34:35], v[24:25], v[28:29]
	v_add_f64 v[24:25], v[24:25], -v[28:29]
	v_add_f64 v[6:7], v[32:33], v[6:7]
	v_add_f64 v[32:33], v[26:27], v[30:31]
	v_mul_f64 v[28:29], v[24:25], s[16:17]
	v_add_f64 v[26:27], v[26:27], -v[30:31]
	v_fma_f64 v[30:31], v[32:33], s[14:15], -v[28:29]
	v_add_f64 v[30:31], v[30:31], v[38:39]
	v_mul_f64 v[38:39], v[26:27], s[16:17]
	v_fmac_f64_e32 v[28:29], s[14:15], v[32:33]
	v_fma_f64 v[40:41], s[14:15], v[34:35], v[38:39]
	v_add_f64 v[28:29], v[28:29], v[36:37]
	v_fma_f64 v[36:37], v[34:35], s[14:15], -v[38:39]
	v_mul_f64 v[38:39], v[24:25], s[48:49]
	v_fma_f64 v[126:127], v[42:43], s[24:25], -v[126:127]
	v_fma_f64 v[42:43], v[32:33], s[8:9], -v[38:39]
	v_fmac_f64_e32 v[38:39], s[8:9], v[32:33]
	v_add_f64 v[36:37], v[36:37], v[44:45]
	v_mul_f64 v[44:45], v[26:27], s[48:49]
	v_add_f64 v[38:39], v[38:39], v[46:47]
	v_mul_f64 v[46:47], v[24:25], s[36:37]
	v_add_f64 v[40:41], v[40:41], v[48:49]
	v_add_f64 v[42:43], v[42:43], v[50:51]
	v_fma_f64 v[48:49], s[8:9], v[34:35], v[44:45]
	v_fma_f64 v[44:45], v[34:35], s[8:9], -v[44:45]
	v_fma_f64 v[50:51], v[32:33], s[24:25], -v[46:47]
	v_fmac_f64_e32 v[46:47], s[24:25], v[32:33]
	v_add_f64 v[44:45], v[44:45], v[52:53]
	v_mul_f64 v[52:53], v[26:27], s[36:37]
	v_add_f64 v[46:47], v[46:47], v[54:55]
	v_mul_f64 v[54:55], v[24:25], s[26:27]
	v_add_f64 v[48:49], v[48:49], v[58:59]
	v_add_f64 v[50:51], v[50:51], v[60:61]
	v_fma_f64 v[58:59], s[24:25], v[34:35], v[52:53]
	;; [unrolled: 10-line block ×4, first 2 shown]
	v_fma_f64 v[100:101], v[32:33], s[18:19], -v[96:97]
	v_add_f64 v[98:99], v[98:99], v[114:115]
	v_fma_f64 v[70:71], v[34:35], s[6:7], -v[70:71]
	v_add_f64 v[114:115], v[100:101], v[116:117]
	v_mul_f64 v[100:101], v[26:27], s[44:45]
	v_add_f64 v[140:141], v[140:141], v[148:149]
	v_add_f64 v[70:71], v[70:71], v[102:103]
	v_fma_f64 v[102:103], s[18:19], v[34:35], v[100:101]
	v_fmac_f64_e32 v[96:97], s[18:19], v[32:33]
	v_fma_f64 v[100:101], v[34:35], s[18:19], -v[100:101]
	v_add_f64 v[132:133], v[132:133], v[140:141]
	v_add_f64 v[96:97], v[96:97], v[112:113]
	;; [unrolled: 1-line block ×3, first 2 shown]
	v_mul_f64 v[100:101], v[24:25], s[30:31]
	v_add_f64 v[152:153], v[152:153], v[156:157]
	v_add_f64 v[142:143], v[142:143], v[150:151]
	;; [unrolled: 1-line block ×4, first 2 shown]
	v_fma_f64 v[102:103], v[32:33], s[28:29], -v[100:101]
	v_add_f64 v[154:155], v[154:155], v[158:159]
	v_add_f64 v[144:145], v[144:145], v[152:153]
	;; [unrolled: 1-line block ×4, first 2 shown]
	v_mul_f64 v[102:103], v[26:27], s[30:31]
	v_fmac_f64_e32 v[100:101], s[28:29], v[32:33]
	v_add_f64 v[146:147], v[146:147], v[154:155]
	v_add_f64 v[136:137], v[136:137], v[144:145]
	;; [unrolled: 1-line block ×3, first 2 shown]
	v_fma_f64 v[122:123], s[28:29], v[34:35], v[102:103]
	v_add_f64 v[120:121], v[100:101], v[120:121]
	v_fma_f64 v[100:101], v[34:35], s[28:29], -v[102:103]
	v_mul_f64 v[24:25], v[24:25], s[20:21]
	v_add_f64 v[138:139], v[138:139], v[146:147]
	v_add_f64 v[128:129], v[128:129], v[136:137]
	;; [unrolled: 1-line block ×4, first 2 shown]
	v_fma_f64 v[100:101], v[32:33], s[12:13], -v[24:25]
	v_mul_f64 v[26:27], v[26:27], s[20:21]
	v_fmac_f64_e32 v[24:25], s[12:13], v[32:33]
	v_add_f64 v[130:131], v[130:131], v[138:139]
	v_add_f64 v[124:125], v[100:101], v[128:129]
	v_fma_f64 v[100:101], s[12:13], v[34:35], v[26:27]
	v_add_f64 v[128:129], v[24:25], v[4:5]
	v_fma_f64 v[4:5], v[34:35], s[12:13], -v[26:27]
	v_add_f64 v[138:139], v[16:17], -v[20:21]
	v_add_f64 v[126:127], v[100:101], v[130:131]
	v_add_f64 v[130:131], v[4:5], v[6:7]
	;; [unrolled: 1-line block ×3, first 2 shown]
	v_mul_f64 v[4:5], v[138:139], s[26:27]
	v_add_f64 v[136:137], v[18:19], -v[22:23]
	v_fma_f64 v[6:7], v[132:133], s[22:23], -v[4:5]
	v_add_f64 v[134:135], v[16:17], v[20:21]
	v_add_f64 v[140:141], v[6:7], v[30:31]
	v_mul_f64 v[6:7], v[136:137], s[26:27]
	v_fma_f64 v[16:17], s[22:23], v[134:135], v[6:7]
	v_mul_f64 v[20:21], v[138:139], s[20:21]
	v_add_f64 v[142:143], v[16:17], v[40:41]
	v_fma_f64 v[16:17], v[132:133], s[12:13], -v[20:21]
	v_mul_f64 v[22:23], v[136:137], s[20:21]
	v_fmac_f64_e32 v[20:21], s[12:13], v[132:133]
	v_mul_f64 v[26:27], v[136:137], s[42:43]
	v_fmac_f64_e32 v[4:5], s[22:23], v[132:133]
	v_fma_f64 v[18:19], s[12:13], v[134:135], v[22:23]
	v_add_f64 v[102:103], v[20:21], v[38:39]
	v_fma_f64 v[20:21], v[134:135], s[12:13], -v[22:23]
	v_fma_f64 v[22:23], s[6:7], v[134:135], v[26:27]
	v_mul_f64 v[32:33], v[138:139], s[52:53]
	v_add_f64 v[4:5], v[4:5], v[28:29]
	v_fma_f64 v[6:7], v[134:135], s[22:23], -v[6:7]
	v_add_f64 v[22:23], v[22:23], v[58:59]
	v_fma_f64 v[26:27], v[134:135], s[6:7], -v[26:27]
	v_fma_f64 v[28:29], v[132:133], s[14:15], -v[32:33]
	v_mul_f64 v[40:41], v[138:139], s[36:37]
	v_mul_f64 v[58:59], v[138:139], s[38:39]
	v_add_f64 v[6:7], v[6:7], v[36:37]
	v_add_f64 v[26:27], v[26:27], v[52:53]
	;; [unrolled: 1-line block ×3, first 2 shown]
	v_mul_f64 v[34:35], v[136:137], s[52:53]
	v_fma_f64 v[36:37], v[132:133], s[24:25], -v[40:41]
	v_fma_f64 v[52:53], v[132:133], s[18:19], -v[58:59]
	v_mul_f64 v[60:61], v[136:137], s[38:39]
	v_fmac_f64_e32 v[58:59], s[18:19], v[132:133]
	v_add_f64 v[16:17], v[16:17], v[42:43]
	v_fma_f64 v[30:31], s[14:15], v[134:135], v[34:35]
	v_add_f64 v[36:37], v[36:37], v[68:69]
	v_mul_f64 v[42:43], v[136:137], s[36:37]
	v_add_f64 v[68:69], v[58:59], v[120:121]
	v_fma_f64 v[58:59], v[134:135], s[18:19], -v[60:61]
	v_add_f64 v[30:31], v[30:31], v[66:67]
	v_fmac_f64_e32 v[32:33], s[14:15], v[132:133]
	v_fma_f64 v[38:39], s[24:25], v[134:135], v[42:43]
	v_fma_f64 v[42:43], v[134:135], s[24:25], -v[42:43]
	v_add_f64 v[66:67], v[58:59], v[122:123]
	v_mul_f64 v[58:59], v[138:139], s[10:11]
	v_add_f64 v[18:19], v[18:19], v[48:49]
	v_add_f64 v[32:33], v[32:33], v[54:55]
	v_fmac_f64_e32 v[40:41], s[24:25], v[132:133]
	v_add_f64 v[42:43], v[42:43], v[70:71]
	v_mul_f64 v[48:49], v[138:139], s[30:31]
	v_fma_f64 v[54:55], s[18:19], v[134:135], v[60:61]
	v_fma_f64 v[60:61], v[132:133], s[8:9], -v[58:59]
	v_mul_f64 v[70:71], v[136:137], s[10:11]
	v_add_f64 v[100:101], v[20:21], v[44:45]
	v_fma_f64 v[34:35], v[134:135], s[14:15], -v[34:35]
	v_add_f64 v[38:39], v[38:39], v[98:99]
	v_add_f64 v[40:41], v[40:41], v[64:65]
	v_fma_f64 v[44:45], v[132:133], s[28:29], -v[48:49]
	v_fmac_f64_e32 v[48:49], s[28:29], v[132:133]
	v_add_f64 v[64:65], v[60:61], v[124:125]
	v_fma_f64 v[60:61], s[8:9], v[134:135], v[70:71]
	v_fmac_f64_e32 v[58:59], s[8:9], v[132:133]
	v_add_f64 v[98:99], v[8:9], -v[12:13]
	v_add_f64 v[34:35], v[34:35], v[62:63]
	v_add_f64 v[48:49], v[48:49], v[96:97]
	;; [unrolled: 1-line block ×5, first 2 shown]
	v_fma_f64 v[58:59], v[134:135], s[8:9], -v[70:71]
	v_add_f64 v[94:95], v[10:11], v[14:15]
	v_add_f64 v[70:71], v[8:9], v[12:13]
	v_add_f64 v[96:97], v[10:11], -v[14:15]
	v_mul_f64 v[12:13], v[98:99], s[30:31]
	v_fma_f64 v[8:9], v[94:95], s[28:29], -v[12:13]
	v_mul_f64 v[14:15], v[96:97], s[30:31]
	v_fmac_f64_e32 v[12:13], s[28:29], v[94:95]
	v_mul_f64 v[24:25], v[138:139], s[42:43]
	v_add_f64 v[4:5], v[12:13], v[4:5]
	v_fma_f64 v[12:13], v[70:71], s[28:29], -v[14:15]
	v_fma_f64 v[20:21], v[132:133], s[6:7], -v[24:25]
	v_add_f64 v[6:7], v[12:13], v[6:7]
	v_mul_f64 v[12:13], v[98:99], s[40:41]
	v_add_f64 v[20:21], v[20:21], v[50:51]
	v_fmac_f64_e32 v[24:25], s[6:7], v[132:133]
	v_mul_f64 v[50:51], v[136:137], s[30:31]
	v_fma_f64 v[10:11], s[28:29], v[70:71], v[14:15]
	v_fma_f64 v[14:15], v[94:95], s[24:25], -v[12:13]
	v_add_f64 v[24:25], v[24:25], v[46:47]
	v_fma_f64 v[46:47], s[28:29], v[134:135], v[50:51]
	v_fma_f64 v[50:51], v[134:135], s[28:29], -v[50:51]
	v_add_f64 v[16:17], v[14:15], v[16:17]
	v_mul_f64 v[14:15], v[96:97], s[40:41]
	v_add_f64 v[50:51], v[50:51], v[112:113]
	v_fma_f64 v[112:113], s[24:25], v[70:71], v[14:15]
	v_fma_f64 v[14:15], v[70:71], s[24:25], -v[14:15]
	v_fmac_f64_e32 v[12:13], s[24:25], v[94:95]
	v_add_f64 v[14:15], v[14:15], v[100:101]
	v_mul_f64 v[100:101], v[98:99], s[26:27]
	v_add_f64 v[12:13], v[12:13], v[102:103]
	v_fma_f64 v[102:103], v[94:95], s[22:23], -v[100:101]
	v_add_f64 v[20:21], v[102:103], v[20:21]
	v_mul_f64 v[102:103], v[96:97], s[26:27]
	v_fmac_f64_e32 v[100:101], s[22:23], v[94:95]
	v_add_f64 v[24:25], v[100:101], v[24:25]
	v_fma_f64 v[100:101], v[70:71], s[22:23], -v[102:103]
	v_add_f64 v[26:27], v[100:101], v[26:27]
	v_mul_f64 v[100:101], v[98:99], s[38:39]
	v_add_f64 v[18:19], v[112:113], v[18:19]
	v_fma_f64 v[112:113], s[22:23], v[70:71], v[102:103]
	v_fma_f64 v[102:103], v[94:95], s[18:19], -v[100:101]
	v_add_f64 v[28:29], v[102:103], v[28:29]
	v_mul_f64 v[102:103], v[96:97], s[38:39]
	v_fmac_f64_e32 v[100:101], s[18:19], v[94:95]
	v_add_f64 v[32:33], v[100:101], v[32:33]
	v_fma_f64 v[100:101], v[70:71], s[18:19], -v[102:103]
	v_add_f64 v[34:35], v[100:101], v[34:35]
	v_mul_f64 v[100:101], v[98:99], s[16:17]
	v_add_f64 v[22:23], v[112:113], v[22:23]
	v_fma_f64 v[112:113], s[18:19], v[70:71], v[102:103]
	v_fma_f64 v[102:103], v[94:95], s[14:15], -v[100:101]
	v_add_f64 v[36:37], v[102:103], v[36:37]
	v_mul_f64 v[102:103], v[96:97], s[16:17]
	v_fmac_f64_e32 v[100:101], s[14:15], v[94:95]
	v_add_f64 v[40:41], v[100:101], v[40:41]
	v_fma_f64 v[100:101], v[70:71], s[14:15], -v[102:103]
	v_add_f64 v[42:43], v[100:101], v[42:43]
	v_mul_f64 v[100:101], v[98:99], s[20:21]
	v_add_f64 v[44:45], v[44:45], v[114:115]
	v_add_f64 v[30:31], v[112:113], v[30:31]
	v_fma_f64 v[112:113], s[14:15], v[70:71], v[102:103]
	v_fma_f64 v[102:103], v[94:95], s[12:13], -v[100:101]
	v_add_f64 v[44:45], v[102:103], v[44:45]
	v_mul_f64 v[102:103], v[96:97], s[20:21]
	v_fmac_f64_e32 v[100:101], s[12:13], v[94:95]
	v_add_f64 v[48:49], v[100:101], v[48:49]
	v_fma_f64 v[100:101], v[70:71], s[12:13], -v[102:103]
	v_add_f64 v[50:51], v[100:101], v[50:51]
	v_mul_f64 v[100:101], v[98:99], s[10:11]
	v_add_f64 v[52:53], v[52:53], v[118:119]
	v_add_f64 v[38:39], v[112:113], v[38:39]
	v_fma_f64 v[112:113], s[12:13], v[70:71], v[102:103]
	v_fma_f64 v[102:103], v[94:95], s[8:9], -v[100:101]
	v_add_f64 v[52:53], v[102:103], v[52:53]
	v_mul_f64 v[102:103], v[96:97], s[10:11]
	v_fmac_f64_e32 v[100:101], s[8:9], v[94:95]
	v_add_f64 v[46:47], v[46:47], v[116:117]
	v_add_f64 v[100:101], v[100:101], v[68:69]
	v_fma_f64 v[68:69], v[70:71], s[8:9], -v[102:103]
	v_add_f64 v[46:47], v[112:113], v[46:47]
	v_fma_f64 v[112:113], s[8:9], v[70:71], v[102:103]
	v_add_f64 v[102:103], v[68:69], v[66:67]
	v_mul_f64 v[68:69], v[98:99], s[34:35]
	v_fma_f64 v[66:67], v[94:95], s[6:7], -v[68:69]
	v_mul_f64 v[96:97], v[96:97], s[34:35]
	v_add_f64 v[64:65], v[66:67], v[64:65]
	v_fma_f64 v[66:67], s[6:7], v[70:71], v[96:97]
	v_add_f64 v[58:59], v[58:59], v[130:131]
	v_add_f64 v[66:67], v[66:67], v[62:63]
	v_fmac_f64_e32 v[68:69], s[6:7], v[94:95]
	v_fma_f64 v[62:63], v[70:71], s[6:7], -v[96:97]
	v_add_f64 v[8:9], v[8:9], v[140:141]
	v_add_f64 v[10:11], v[10:11], v[142:143]
	;; [unrolled: 1-line block ×5, first 2 shown]
	ds_write_b128 v56, v[0:3]
	ds_write_b128 v56, v[8:11] offset:272
	ds_write_b128 v56, v[16:19] offset:544
	;; [unrolled: 1-line block ×16, first 2 shown]
	s_waitcnt lgkmcnt(0)
	s_barrier
	ds_read_b128 v[32:35], v160
	ds_read_b128 v[68:71], v162 offset:4624
	ds_read_b128 v[40:43], v162 offset:5168
	;; [unrolled: 1-line block ×3, first 2 shown]
	ds_read_b128 v[28:31], v110
	ds_read_b128 v[24:27], v109
	ds_read_b128 v[48:51], v162 offset:6256
	ds_read_b128 v[52:55], v162 offset:6800
	ds_read_b128 v[20:23], v108
	ds_read_b128 v[16:19], v107
	ds_read_b128 v[56:59], v162 offset:7344
	ds_read_b128 v[60:63], v162 offset:7888
	ds_read_b128 v[12:15], v106
	ds_read_b128 v[8:11], v105
	;; [unrolled: 1-line block ×3, first 2 shown]
	ds_read_b128 v[64:67], v162 offset:8432
                                        ; implicit-def: $vgpr2_vgpr3
	s_and_saveexec_b64 s[6:7], s[2:3]
	s_cbranch_execz .LBB0_14
; %bb.13:
	ds_read_b128 v[4:7], v104
	ds_read_b128 v[0:3], v162 offset:8976
	v_mov_b32_e32 v92, v76
.LBB0_14:
	s_or_b64 exec, exec, s[6:7]
	v_lshl_add_u64 v[94:95], v[72:73], 4, s[4:5]
	s_movk_i32 s6, 0x1000
	v_add_co_u32_e32 v102, vcc, s6, v94
	v_mov_b32_e32 v89, v73
	s_nop 0
	v_addc_co_u32_e32 v103, vcc, 0, v95, vcc
	v_lshl_add_u64 v[94:95], v[88:89], 4, s[4:5]
	v_add_co_u32_e32 v112, vcc, s6, v94
	v_mov_b32_e32 v91, v73
	s_nop 0
	v_addc_co_u32_e32 v113, vcc, 0, v95, vcc
	global_load_dwordx4 v[94:97], v[102:103], off offset:256
	global_load_dwordx4 v[98:101], v[112:113], off offset:256
	v_lshl_add_u64 v[102:103], v[90:91], 4, s[4:5]
	v_add_co_u32_e32 v102, vcc, s6, v102
	v_mov_b32_e32 v87, v73
	s_nop 0
	v_addc_co_u32_e32 v103, vcc, 0, v103, vcc
	v_lshl_add_u64 v[112:113], v[86:87], 4, s[4:5]
	v_add_co_u32_e32 v120, vcc, s6, v112
	v_mov_b32_e32 v85, v73
	s_nop 0
	v_addc_co_u32_e32 v121, vcc, 0, v113, vcc
	global_load_dwordx4 v[112:115], v[102:103], off offset:256
	global_load_dwordx4 v[116:119], v[120:121], off offset:256
	v_lshl_add_u64 v[102:103], v[84:85], 4, s[4:5]
	v_add_co_u32_e32 v102, vcc, s6, v102
	v_mov_b32_e32 v83, v73
	s_nop 0
	v_addc_co_u32_e32 v103, vcc, 0, v103, vcc
	v_lshl_add_u64 v[120:121], v[82:83], 4, s[4:5]
	v_add_co_u32_e32 v124, vcc, s6, v120
	v_mov_b32_e32 v81, v73
	s_nop 0
	v_addc_co_u32_e32 v125, vcc, 0, v121, vcc
	global_load_dwordx4 v[120:123], v[102:103], off offset:256
	s_nop 0
	global_load_dwordx4 v[124:127], v[124:125], off offset:256
	v_lshl_add_u64 v[102:103], v[80:81], 4, s[4:5]
	v_add_co_u32_e32 v102, vcc, s6, v102
	v_mov_b32_e32 v79, v73
	s_nop 0
	v_addc_co_u32_e32 v103, vcc, 0, v103, vcc
	global_load_dwordx4 v[128:131], v[102:103], off offset:256
	v_lshl_add_u64 v[102:103], v[78:79], 4, s[4:5]
	v_add_co_u32_e32 v102, vcc, s6, v102
	s_waitcnt vmcnt(2) lgkmcnt(8)
	v_mul_f64 v[136:137], v[54:55], v[122:123]
	v_addc_co_u32_e32 v103, vcc, 0, v103, vcc
	global_load_dwordx4 v[132:135], v[102:103], off offset:256
	v_mul_f64 v[102:103], v[70:71], v[96:97]
	v_mul_f64 v[96:97], v[68:69], v[96:97]
	v_fma_f64 v[68:69], v[68:69], v[94:95], -v[102:103]
	v_fmac_f64_e32 v[96:97], v[70:71], v[94:95]
	v_mul_f64 v[70:71], v[42:43], v[100:101]
	v_mul_f64 v[94:95], v[40:41], v[100:101]
	;; [unrolled: 1-line block ×5, first 2 shown]
	s_waitcnt vmcnt(2) lgkmcnt(5)
	v_mul_f64 v[138:139], v[58:59], v[126:127]
	v_mul_f64 v[126:127], v[56:57], v[126:127]
	;; [unrolled: 1-line block ×4, first 2 shown]
	s_waitcnt vmcnt(1) lgkmcnt(4)
	v_mul_f64 v[140:141], v[62:63], v[130:131]
	v_mul_f64 v[130:131], v[60:61], v[130:131]
	v_fma_f64 v[70:71], v[40:41], v[98:99], -v[70:71]
	v_fmac_f64_e32 v[94:95], v[42:43], v[98:99]
	v_fma_f64 v[98:99], v[44:45], v[112:113], -v[100:101]
	v_fma_f64 v[100:101], v[48:49], v[116:117], -v[114:115]
	;; [unrolled: 1-line block ×3, first 2 shown]
	v_fmac_f64_e32 v[126:127], v[58:59], v[124:125]
	v_fmac_f64_e32 v[102:103], v[46:47], v[112:113]
	;; [unrolled: 1-line block ×3, first 2 shown]
	v_fma_f64 v[112:113], v[52:53], v[120:121], -v[136:137]
	v_fmac_f64_e32 v[122:123], v[54:55], v[120:121]
	v_fma_f64 v[116:117], v[60:61], v[128:129], -v[140:141]
	v_fmac_f64_e32 v[130:131], v[62:63], v[128:129]
	v_add_f64 v[40:41], v[32:33], -v[68:69]
	v_add_f64 v[42:43], v[34:35], -v[96:97]
	v_fma_f64 v[32:33], v[32:33], 2.0, -v[40:41]
	v_fma_f64 v[34:35], v[34:35], 2.0, -v[42:43]
	s_waitcnt lgkmcnt(1)
	v_add_f64 v[44:45], v[36:37], -v[70:71]
	v_add_f64 v[46:47], v[38:39], -v[94:95]
	;; [unrolled: 1-line block ×10, first 2 shown]
	v_fma_f64 v[36:37], v[36:37], 2.0, -v[44:45]
	v_fma_f64 v[38:39], v[38:39], 2.0, -v[46:47]
	;; [unrolled: 1-line block ×10, first 2 shown]
	s_waitcnt lgkmcnt(0)
	s_barrier
	s_waitcnt vmcnt(0)
	v_mul_f64 v[142:143], v[66:67], v[134:135]
	v_mul_f64 v[124:125], v[64:65], v[134:135]
	v_fma_f64 v[120:121], v[64:65], v[132:133], -v[142:143]
	v_fmac_f64_e32 v[124:125], v[66:67], v[132:133]
	v_add_f64 v[64:65], v[12:13], -v[116:117]
	v_add_f64 v[66:67], v[14:15], -v[130:131]
	;; [unrolled: 1-line block ×4, first 2 shown]
	v_fma_f64 v[12:13], v[12:13], 2.0, -v[64:65]
	v_fma_f64 v[14:15], v[14:15], 2.0, -v[66:67]
	v_fma_f64 v[8:9], v[8:9], 2.0, -v[68:69]
	v_fma_f64 v[10:11], v[10:11], 2.0, -v[70:71]
	ds_write_b128 v162, v[32:35]
	ds_write_b128 v162, v[40:43] offset:4624
	ds_write_b128 v111, v[36:39]
	ds_write_b128 v111, v[44:47] offset:4624
	;; [unrolled: 2-line block ×8, first 2 shown]
	s_and_saveexec_b64 s[6:7], s[2:3]
	s_cbranch_execz .LBB0_16
; %bb.15:
	v_mov_b32_e32 v93, 0
	v_lshl_add_u64 v[8:9], v[92:93], 4, s[4:5]
	v_add_co_u32_e32 v8, vcc, 0x1000, v8
	s_nop 1
	v_addc_co_u32_e32 v9, vcc, 0, v9, vcc
	global_load_dwordx4 v[8:11], v[8:9], off offset:256
	s_waitcnt vmcnt(0)
	v_mul_f64 v[12:13], v[0:1], v[10:11]
	v_mul_f64 v[10:11], v[2:3], v[10:11]
	v_fmac_f64_e32 v[12:13], v[2:3], v[8:9]
	v_fma_f64 v[0:1], v[0:1], v[8:9], -v[10:11]
	v_add_f64 v[2:3], v[6:7], -v[12:13]
	v_add_f64 v[0:1], v[4:5], -v[0:1]
	v_fma_f64 v[6:7], v[6:7], 2.0, -v[2:3]
	v_fma_f64 v[4:5], v[4:5], 2.0, -v[0:1]
	ds_write_b128 v162, v[4:7] offset:4352
	ds_write_b128 v162, v[0:3] offset:8976
.LBB0_16:
	s_or_b64 exec, exec, s[6:7]
	s_waitcnt lgkmcnt(0)
	s_barrier
	ds_read_b128 v[8:11], v160
	s_add_u32 s4, s4, 0x2310
	s_addc_u32 s5, s5, 0
	v_sub_u32_e32 v12, v161, v77
	v_cmp_ne_u32_e32 vcc, 0, v72
                                        ; implicit-def: $vgpr6_vgpr7
                                        ; implicit-def: $vgpr2_vgpr3
	s_and_saveexec_b64 s[6:7], vcc
	s_xor_b64 s[6:7], exec, s[6:7]
	s_cbranch_execz .LBB0_18
; %bb.17:
	v_lshl_add_u64 v[0:1], v[72:73], 4, s[4:5]
	global_load_dwordx4 v[14:17], v[0:1], off
	ds_read_b128 v[0:3], v12 offset:9248
                                        ; implicit-def: $vgpr161
	s_waitcnt lgkmcnt(0)
	v_add_f64 v[4:5], v[8:9], v[0:1]
	v_add_f64 v[0:1], v[8:9], -v[0:1]
	v_add_f64 v[6:7], v[10:11], v[2:3]
	v_add_f64 v[2:3], v[10:11], -v[2:3]
	v_mul_f64 v[8:9], v[0:1], 0.5
	v_mul_f64 v[6:7], v[6:7], 0.5
	;; [unrolled: 1-line block ×3, first 2 shown]
	s_waitcnt vmcnt(0)
	v_mul_f64 v[10:11], v[8:9], v[16:17]
	v_fma_f64 v[2:3], v[6:7], v[16:17], v[0:1]
	v_fma_f64 v[16:17], v[6:7], v[16:17], -v[0:1]
	v_fma_f64 v[0:1], 0.5, v[4:5], v[10:11]
	v_fma_f64 v[4:5], v[4:5], 0.5, -v[10:11]
	v_fma_f64 v[2:3], -v[14:15], v[8:9], v[2:3]
	v_fmac_f64_e32 v[0:1], v[6:7], v[14:15]
	v_fma_f64 v[4:5], -v[6:7], v[14:15], v[4:5]
	v_fma_f64 v[6:7], -v[14:15], v[8:9], v[16:17]
                                        ; implicit-def: $vgpr8_vgpr9
.LBB0_18:
	s_andn2_saveexec_b64 s[6:7], s[6:7]
	s_cbranch_execz .LBB0_20
; %bb.19:
	ds_read_b64 v[6:7], v161 offset:4632
	v_mov_b64_e32 v[2:3], 0
	s_waitcnt lgkmcnt(1)
	v_add_f64 v[0:1], v[8:9], v[10:11]
	v_add_f64 v[4:5], v[8:9], -v[10:11]
	s_waitcnt lgkmcnt(0)
	v_xor_b32_e32 v7, 0x80000000, v7
	ds_write_b64 v161, v[6:7] offset:4632
	v_mov_b64_e32 v[6:7], v[2:3]
.LBB0_20:
	s_or_b64 exec, exec, s[6:7]
	s_waitcnt lgkmcnt(0)
	v_lshl_add_u64 v[8:9], v[88:89], 4, s[4:5]
	global_load_dwordx4 v[8:11], v[8:9], off
	v_lshl_add_u64 v[14:15], v[90:91], 4, s[4:5]
	global_load_dwordx4 v[14:17], v[14:15], off
	;; [unrolled: 2-line block ×3, first 2 shown]
	ds_write_b128 v160, v[0:3]
	ds_write_b128 v12, v[4:7] offset:9248
	v_lshl_add_u64 v[0:1], v[84:85], 4, s[4:5]
	ds_read_b128 v[4:7], v111
	ds_read_b128 v[22:25], v12 offset:8704
	global_load_dwordx4 v[0:3], v[0:1], off
	s_waitcnt lgkmcnt(0)
	v_add_f64 v[26:27], v[4:5], v[22:23]
	v_add_f64 v[4:5], v[4:5], -v[22:23]
	v_add_f64 v[28:29], v[6:7], v[24:25]
	v_add_f64 v[6:7], v[6:7], -v[24:25]
	v_mul_f64 v[24:25], v[4:5], 0.5
	v_mul_f64 v[22:23], v[28:29], 0.5
	v_mul_f64 v[4:5], v[6:7], 0.5
	s_waitcnt vmcnt(3)
	v_mul_f64 v[28:29], v[24:25], v[10:11]
	v_fma_f64 v[6:7], v[22:23], v[10:11], v[4:5]
	v_fma_f64 v[10:11], v[22:23], v[10:11], -v[4:5]
	v_fma_f64 v[4:5], 0.5, v[26:27], v[28:29]
	v_fma_f64 v[6:7], -v[8:9], v[24:25], v[6:7]
	v_fma_f64 v[26:27], v[26:27], 0.5, -v[28:29]
	v_fmac_f64_e32 v[4:5], v[22:23], v[8:9]
	v_fma_f64 v[10:11], -v[8:9], v[24:25], v[10:11]
	v_fma_f64 v[8:9], -v[22:23], v[8:9], v[26:27]
	ds_write_b128 v111, v[4:7]
	ds_write_b128 v12, v[8:11] offset:8704
	v_lshl_add_u64 v[22:23], v[82:83], 4, s[4:5]
	ds_read_b128 v[4:7], v110
	ds_read_b128 v[8:11], v12 offset:8160
	global_load_dwordx4 v[22:25], v[22:23], off
	s_waitcnt lgkmcnt(0)
	v_add_f64 v[26:27], v[4:5], v[8:9]
	v_add_f64 v[4:5], v[4:5], -v[8:9]
	v_add_f64 v[28:29], v[6:7], v[10:11]
	v_add_f64 v[6:7], v[6:7], -v[10:11]
	v_mul_f64 v[10:11], v[4:5], 0.5
	v_mul_f64 v[8:9], v[28:29], 0.5
	v_mul_f64 v[4:5], v[6:7], 0.5
	s_waitcnt vmcnt(3)
	v_mul_f64 v[28:29], v[10:11], v[16:17]
	v_fma_f64 v[6:7], v[8:9], v[16:17], v[4:5]
	v_fma_f64 v[16:17], v[8:9], v[16:17], -v[4:5]
	v_fma_f64 v[4:5], 0.5, v[26:27], v[28:29]
	v_fma_f64 v[6:7], -v[14:15], v[10:11], v[6:7]
	v_fma_f64 v[26:27], v[26:27], 0.5, -v[28:29]
	v_fmac_f64_e32 v[4:5], v[8:9], v[14:15]
	v_fma_f64 v[10:11], -v[14:15], v[10:11], v[16:17]
	v_fma_f64 v[8:9], -v[8:9], v[14:15], v[26:27]
	;; [unrolled: 24-line block ×4, first 2 shown]
	ds_write_b128 v108, v[2:5]
	ds_write_b128 v12, v[6:9] offset:7072
	ds_read_b128 v[0:3], v107
	ds_read_b128 v[4:7], v12 offset:6528
	s_waitcnt lgkmcnt(0)
	v_add_f64 v[8:9], v[0:1], v[4:5]
	v_add_f64 v[0:1], v[0:1], -v[4:5]
	v_add_f64 v[10:11], v[2:3], v[6:7]
	v_add_f64 v[2:3], v[2:3], -v[6:7]
	v_mul_f64 v[6:7], v[0:1], 0.5
	v_mul_f64 v[4:5], v[10:11], 0.5
	;; [unrolled: 1-line block ×3, first 2 shown]
	s_waitcnt vmcnt(2)
	v_mul_f64 v[10:11], v[6:7], v[24:25]
	v_fma_f64 v[2:3], v[4:5], v[24:25], v[0:1]
	v_fma_f64 v[24:25], v[4:5], v[24:25], -v[0:1]
	v_fma_f64 v[0:1], 0.5, v[8:9], v[10:11]
	v_fma_f64 v[2:3], -v[22:23], v[6:7], v[2:3]
	v_fma_f64 v[8:9], v[8:9], 0.5, -v[10:11]
	v_fmac_f64_e32 v[0:1], v[4:5], v[22:23]
	v_fma_f64 v[6:7], -v[22:23], v[6:7], v[24:25]
	v_fma_f64 v[4:5], -v[4:5], v[22:23], v[8:9]
	ds_write_b128 v107, v[0:3]
	ds_write_b128 v12, v[4:7] offset:6528
	ds_read_b128 v[0:3], v106
	ds_read_b128 v[4:7], v12 offset:5984
	s_waitcnt lgkmcnt(0)
	v_add_f64 v[8:9], v[0:1], v[4:5]
	v_add_f64 v[0:1], v[0:1], -v[4:5]
	v_add_f64 v[10:11], v[2:3], v[6:7]
	v_add_f64 v[2:3], v[2:3], -v[6:7]
	v_mul_f64 v[6:7], v[0:1], 0.5
	v_mul_f64 v[4:5], v[10:11], 0.5
	;; [unrolled: 1-line block ×3, first 2 shown]
	s_waitcnt vmcnt(1)
	v_mul_f64 v[10:11], v[6:7], v[16:17]
	v_fma_f64 v[2:3], v[4:5], v[16:17], v[0:1]
	v_fma_f64 v[16:17], v[4:5], v[16:17], -v[0:1]
	v_fma_f64 v[0:1], 0.5, v[8:9], v[10:11]
	v_fma_f64 v[2:3], -v[14:15], v[6:7], v[2:3]
	v_fma_f64 v[8:9], v[8:9], 0.5, -v[10:11]
	v_fmac_f64_e32 v[0:1], v[4:5], v[14:15]
	v_fma_f64 v[6:7], -v[14:15], v[6:7], v[16:17]
	v_fma_f64 v[4:5], -v[4:5], v[14:15], v[8:9]
	ds_write_b128 v106, v[0:3]
	ds_write_b128 v12, v[4:7] offset:5984
	ds_read_b128 v[0:3], v105
	ds_read_b128 v[4:7], v12 offset:5440
	s_waitcnt lgkmcnt(0)
	v_add_f64 v[8:9], v[0:1], v[4:5]
	v_add_f64 v[0:1], v[0:1], -v[4:5]
	v_add_f64 v[10:11], v[2:3], v[6:7]
	v_add_f64 v[2:3], v[2:3], -v[6:7]
	v_mul_f64 v[6:7], v[0:1], 0.5
	v_mul_f64 v[4:5], v[10:11], 0.5
	;; [unrolled: 1-line block ×3, first 2 shown]
	s_waitcnt vmcnt(0)
	v_mul_f64 v[14:15], v[6:7], v[20:21]
	v_fma_f64 v[2:3], v[4:5], v[20:21], v[10:11]
	v_fma_f64 v[0:1], 0.5, v[8:9], v[14:15]
	v_fma_f64 v[2:3], -v[18:19], v[6:7], v[2:3]
	v_fmac_f64_e32 v[0:1], v[4:5], v[18:19]
	ds_write_b128 v105, v[0:3]
	v_fma_f64 v[0:1], v[8:9], 0.5, -v[14:15]
	v_fma_f64 v[2:3], v[4:5], v[20:21], -v[10:11]
	v_fma_f64 v[0:1], -v[4:5], v[18:19], v[0:1]
	v_fma_f64 v[2:3], -v[18:19], v[6:7], v[2:3]
	ds_write_b128 v12, v[0:3] offset:5440
	s_and_saveexec_b64 s[6:7], s[2:3]
	s_cbranch_execz .LBB0_22
; %bb.21:
	v_mov_b32_e32 v77, 0
	v_lshl_add_u64 v[0:1], v[76:77], 4, s[4:5]
	global_load_dwordx4 v[0:3], v[0:1], off
	ds_read_b128 v[4:7], v104
	ds_read_b128 v[8:11], v12 offset:4896
	s_waitcnt lgkmcnt(0)
	v_add_f64 v[14:15], v[4:5], v[8:9]
	v_add_f64 v[4:5], v[4:5], -v[8:9]
	v_add_f64 v[16:17], v[6:7], v[10:11]
	v_add_f64 v[6:7], v[6:7], -v[10:11]
	v_mul_f64 v[8:9], v[4:5], 0.5
	v_mul_f64 v[10:11], v[16:17], 0.5
	;; [unrolled: 1-line block ×3, first 2 shown]
	s_waitcnt vmcnt(0)
	v_mul_f64 v[6:7], v[8:9], v[2:3]
	v_fma_f64 v[16:17], v[10:11], v[2:3], v[4:5]
	v_fma_f64 v[18:19], v[10:11], v[2:3], -v[4:5]
	v_fma_f64 v[2:3], 0.5, v[14:15], v[6:7]
	v_fma_f64 v[4:5], -v[0:1], v[8:9], v[16:17]
	v_fma_f64 v[6:7], v[14:15], 0.5, -v[6:7]
	v_fmac_f64_e32 v[2:3], v[10:11], v[0:1]
	v_fma_f64 v[8:9], -v[0:1], v[8:9], v[18:19]
	v_fma_f64 v[6:7], -v[10:11], v[0:1], v[6:7]
	ds_write_b128 v104, v[2:5]
	ds_write_b128 v12, v[6:9] offset:4896
.LBB0_22:
	s_or_b64 exec, exec, s[6:7]
	s_waitcnt lgkmcnt(0)
	s_barrier
	s_and_saveexec_b64 s[2:3], s[0:1]
	s_cbranch_execz .LBB0_25
; %bb.23:
	ds_read_b128 v[0:3], v160
	ds_read_b128 v[4:7], v160 offset:544
	ds_read_b128 v[8:11], v160 offset:1088
	v_lshl_add_u64 v[20:21], v[72:73], 4, v[74:75]
	s_movk_i32 s0, 0x1000
	v_add_co_u32_e32 v22, vcc, s0, v20
	s_waitcnt lgkmcnt(2)
	global_store_dwordx4 v[20:21], v[0:3], off
	s_waitcnt lgkmcnt(1)
	global_store_dwordx4 v[20:21], v[4:7], off offset:544
	s_waitcnt lgkmcnt(0)
	global_store_dwordx4 v[20:21], v[8:11], off offset:1088
	ds_read_b128 v[0:3], v160 offset:1632
	ds_read_b128 v[4:7], v160 offset:2176
	;; [unrolled: 1-line block ×5, first 2 shown]
	v_addc_co_u32_e32 v23, vcc, 0, v21, vcc
	s_waitcnt lgkmcnt(4)
	global_store_dwordx4 v[20:21], v[0:3], off offset:1632
	s_waitcnt lgkmcnt(3)
	global_store_dwordx4 v[20:21], v[4:7], off offset:2176
	;; [unrolled: 2-line block ×5, first 2 shown]
	ds_read_b128 v[0:3], v160 offset:4352
	ds_read_b128 v[4:7], v160 offset:4896
	;; [unrolled: 1-line block ×3, first 2 shown]
	s_waitcnt lgkmcnt(2)
	global_store_dwordx4 v[22:23], v[0:3], off offset:256
	s_waitcnt lgkmcnt(1)
	global_store_dwordx4 v[22:23], v[4:7], off offset:800
	;; [unrolled: 2-line block ×3, first 2 shown]
	ds_read_b128 v[0:3], v160 offset:5984
	ds_read_b128 v[4:7], v160 offset:6528
	;; [unrolled: 1-line block ×5, first 2 shown]
	s_waitcnt lgkmcnt(4)
	global_store_dwordx4 v[22:23], v[0:3], off offset:1888
	s_waitcnt lgkmcnt(3)
	global_store_dwordx4 v[22:23], v[4:7], off offset:2432
	;; [unrolled: 2-line block ×5, first 2 shown]
	ds_read_b128 v[0:3], v160 offset:8704
	v_add_co_u32_e32 v4, vcc, 0x2000, v20
	s_nop 1
	v_addc_co_u32_e32 v5, vcc, 0, v21, vcc
	v_cmp_eq_u32_e32 vcc, 33, v72
	s_waitcnt lgkmcnt(0)
	global_store_dwordx4 v[4:5], v[0:3], off offset:512
	s_and_b64 exec, exec, vcc
	s_cbranch_execz .LBB0_25
; %bb.24:
	ds_read_b128 v[0:3], v160 offset:8720
	v_add_co_u32_e32 v4, vcc, 0x2000, v74
	s_nop 1
	v_addc_co_u32_e32 v5, vcc, 0, v75, vcc
	s_waitcnt lgkmcnt(0)
	global_store_dwordx4 v[4:5], v[0:3], off offset:1056
.LBB0_25:
	s_endpgm
	.section	.rodata,"a",@progbits
	.p2align	6, 0x0
	.amdhsa_kernel fft_rtc_fwd_len578_factors_17_17_2_wgs_238_tpt_34_halfLds_dp_ip_CI_unitstride_sbrr_R2C_dirReg
		.amdhsa_group_segment_fixed_size 0
		.amdhsa_private_segment_fixed_size 0
		.amdhsa_kernarg_size 88
		.amdhsa_user_sgpr_count 2
		.amdhsa_user_sgpr_dispatch_ptr 0
		.amdhsa_user_sgpr_queue_ptr 0
		.amdhsa_user_sgpr_kernarg_segment_ptr 1
		.amdhsa_user_sgpr_dispatch_id 0
		.amdhsa_user_sgpr_kernarg_preload_length 0
		.amdhsa_user_sgpr_kernarg_preload_offset 0
		.amdhsa_user_sgpr_private_segment_size 0
		.amdhsa_uses_dynamic_stack 0
		.amdhsa_enable_private_segment 0
		.amdhsa_system_sgpr_workgroup_id_x 1
		.amdhsa_system_sgpr_workgroup_id_y 0
		.amdhsa_system_sgpr_workgroup_id_z 0
		.amdhsa_system_sgpr_workgroup_info 0
		.amdhsa_system_vgpr_workitem_id 0
		.amdhsa_next_free_vgpr 180
		.amdhsa_next_free_sgpr 56
		.amdhsa_accum_offset 180
		.amdhsa_reserve_vcc 1
		.amdhsa_float_round_mode_32 0
		.amdhsa_float_round_mode_16_64 0
		.amdhsa_float_denorm_mode_32 3
		.amdhsa_float_denorm_mode_16_64 3
		.amdhsa_dx10_clamp 1
		.amdhsa_ieee_mode 1
		.amdhsa_fp16_overflow 0
		.amdhsa_tg_split 0
		.amdhsa_exception_fp_ieee_invalid_op 0
		.amdhsa_exception_fp_denorm_src 0
		.amdhsa_exception_fp_ieee_div_zero 0
		.amdhsa_exception_fp_ieee_overflow 0
		.amdhsa_exception_fp_ieee_underflow 0
		.amdhsa_exception_fp_ieee_inexact 0
		.amdhsa_exception_int_div_zero 0
	.end_amdhsa_kernel
	.text
.Lfunc_end0:
	.size	fft_rtc_fwd_len578_factors_17_17_2_wgs_238_tpt_34_halfLds_dp_ip_CI_unitstride_sbrr_R2C_dirReg, .Lfunc_end0-fft_rtc_fwd_len578_factors_17_17_2_wgs_238_tpt_34_halfLds_dp_ip_CI_unitstride_sbrr_R2C_dirReg
                                        ; -- End function
	.section	.AMDGPU.csdata,"",@progbits
; Kernel info:
; codeLenInByte = 17704
; NumSgprs: 62
; NumVgprs: 180
; NumAgprs: 0
; TotalNumVgprs: 180
; ScratchSize: 0
; MemoryBound: 0
; FloatMode: 240
; IeeeMode: 1
; LDSByteSize: 0 bytes/workgroup (compile time only)
; SGPRBlocks: 7
; VGPRBlocks: 22
; NumSGPRsForWavesPerEU: 62
; NumVGPRsForWavesPerEU: 180
; AccumOffset: 180
; Occupancy: 2
; WaveLimiterHint : 1
; COMPUTE_PGM_RSRC2:SCRATCH_EN: 0
; COMPUTE_PGM_RSRC2:USER_SGPR: 2
; COMPUTE_PGM_RSRC2:TRAP_HANDLER: 0
; COMPUTE_PGM_RSRC2:TGID_X_EN: 1
; COMPUTE_PGM_RSRC2:TGID_Y_EN: 0
; COMPUTE_PGM_RSRC2:TGID_Z_EN: 0
; COMPUTE_PGM_RSRC2:TIDIG_COMP_CNT: 0
; COMPUTE_PGM_RSRC3_GFX90A:ACCUM_OFFSET: 44
; COMPUTE_PGM_RSRC3_GFX90A:TG_SPLIT: 0
	.text
	.p2alignl 6, 3212836864
	.fill 256, 4, 3212836864
	.type	__hip_cuid_5901fcece07aa295,@object ; @__hip_cuid_5901fcece07aa295
	.section	.bss,"aw",@nobits
	.globl	__hip_cuid_5901fcece07aa295
__hip_cuid_5901fcece07aa295:
	.byte	0                               ; 0x0
	.size	__hip_cuid_5901fcece07aa295, 1

	.ident	"AMD clang version 19.0.0git (https://github.com/RadeonOpenCompute/llvm-project roc-6.4.0 25133 c7fe45cf4b819c5991fe208aaa96edf142730f1d)"
	.section	".note.GNU-stack","",@progbits
	.addrsig
	.addrsig_sym __hip_cuid_5901fcece07aa295
	.amdgpu_metadata
---
amdhsa.kernels:
  - .agpr_count:     0
    .args:
      - .actual_access:  read_only
        .address_space:  global
        .offset:         0
        .size:           8
        .value_kind:     global_buffer
      - .offset:         8
        .size:           8
        .value_kind:     by_value
      - .actual_access:  read_only
        .address_space:  global
        .offset:         16
        .size:           8
        .value_kind:     global_buffer
      - .actual_access:  read_only
        .address_space:  global
        .offset:         24
        .size:           8
        .value_kind:     global_buffer
      - .offset:         32
        .size:           8
        .value_kind:     by_value
      - .actual_access:  read_only
        .address_space:  global
        .offset:         40
        .size:           8
        .value_kind:     global_buffer
      - .actual_access:  read_only
        .address_space:  global
        .offset:         48
        .size:           8
        .value_kind:     global_buffer
      - .offset:         56
        .size:           4
        .value_kind:     by_value
      - .actual_access:  read_only
        .address_space:  global
        .offset:         64
        .size:           8
        .value_kind:     global_buffer
      - .actual_access:  read_only
        .address_space:  global
        .offset:         72
        .size:           8
        .value_kind:     global_buffer
      - .address_space:  global
        .offset:         80
        .size:           8
        .value_kind:     global_buffer
    .group_segment_fixed_size: 0
    .kernarg_segment_align: 8
    .kernarg_segment_size: 88
    .language:       OpenCL C
    .language_version:
      - 2
      - 0
    .max_flat_workgroup_size: 238
    .name:           fft_rtc_fwd_len578_factors_17_17_2_wgs_238_tpt_34_halfLds_dp_ip_CI_unitstride_sbrr_R2C_dirReg
    .private_segment_fixed_size: 0
    .sgpr_count:     62
    .sgpr_spill_count: 0
    .symbol:         fft_rtc_fwd_len578_factors_17_17_2_wgs_238_tpt_34_halfLds_dp_ip_CI_unitstride_sbrr_R2C_dirReg.kd
    .uniform_work_group_size: 1
    .uses_dynamic_stack: false
    .vgpr_count:     180
    .vgpr_spill_count: 0
    .wavefront_size: 64
amdhsa.target:   amdgcn-amd-amdhsa--gfx950
amdhsa.version:
  - 1
  - 2
...

	.end_amdgpu_metadata
